;; amdgpu-corpus repo=ROCm/rocFFT kind=compiled arch=gfx1201 opt=O3
	.text
	.amdgcn_target "amdgcn-amd-amdhsa--gfx1201"
	.amdhsa_code_object_version 6
	.protected	bluestein_single_fwd_len1404_dim1_sp_op_CI_CI ; -- Begin function bluestein_single_fwd_len1404_dim1_sp_op_CI_CI
	.globl	bluestein_single_fwd_len1404_dim1_sp_op_CI_CI
	.p2align	8
	.type	bluestein_single_fwd_len1404_dim1_sp_op_CI_CI,@function
bluestein_single_fwd_len1404_dim1_sp_op_CI_CI: ; @bluestein_single_fwd_len1404_dim1_sp_op_CI_CI
; %bb.0:
	s_load_b128 s[12:15], s[0:1], 0x28
	v_mul_u32_u24_e32 v1, 0x231, v0
	s_mov_b32 s2, exec_lo
	v_mov_b32_e32 v89, 0
	s_delay_alu instid0(VALU_DEP_2) | instskip(NEXT) | instid1(VALU_DEP_1)
	v_lshrrev_b32_e32 v1, 16, v1
	v_add_nc_u32_e32 v88, ttmp9, v1
	s_wait_kmcnt 0x0
	s_delay_alu instid0(VALU_DEP_1)
	v_cmpx_gt_u64_e64 s[12:13], v[88:89]
	s_cbranch_execz .LBB0_10
; %bb.1:
	s_clause 0x1
	s_load_b128 s[4:7], s[0:1], 0x18
	s_load_b128 s[8:11], s[0:1], 0x0
	v_mul_lo_u16 v1, 0x75, v1
	s_movk_i32 s2, 0xedb8
	s_mov_b32 s3, -1
	s_delay_alu instid0(VALU_DEP_1) | instskip(NEXT) | instid1(VALU_DEP_1)
	v_sub_nc_u16 v20, v0, v1
	v_and_b32_e32 v107, 0xffff, v20
	s_wait_kmcnt 0x0
	s_load_b128 s[16:19], s[4:5], 0x0
	s_wait_kmcnt 0x0
	v_mad_co_u64_u32 v[0:1], null, s18, v88, 0
	v_mad_co_u64_u32 v[2:3], null, s16, v107, 0
	s_mul_u64 s[4:5], s[16:17], 0x15f0
	s_mul_u64 s[2:3], s[16:17], s[2:3]
	s_delay_alu instid0(VALU_DEP_1) | instskip(NEXT) | instid1(VALU_DEP_1)
	v_mad_co_u64_u32 v[4:5], null, s19, v88, v[1:2]
	v_dual_mov_b32 v1, v4 :: v_dual_lshlrev_b32 v108, 3, v107
	s_delay_alu instid0(VALU_DEP_3)
	v_mad_co_u64_u32 v[5:6], null, s17, v107, v[3:4]
	s_clause 0x5
	global_load_b64 v[101:102], v108, s[8:9] offset:5616
	global_load_b64 v[95:96], v108, s[8:9] offset:6552
	global_load_b64 v[103:104], v108, s[8:9]
	global_load_b64 v[99:100], v108, s[8:9] offset:936
	global_load_b64 v[80:81], v108, s[8:9] offset:1872
	;; [unrolled: 1-line block ×3, first 2 shown]
	v_lshlrev_b64_e32 v[0:1], 3, v[0:1]
	s_clause 0x3
	global_load_b64 v[86:87], v108, s[8:9] offset:3744
	global_load_b64 v[93:94], v108, s[8:9] offset:7488
	;; [unrolled: 1-line block ×4, first 2 shown]
	v_mov_b32_e32 v3, v5
	v_add_co_u32 v0, vcc_lo, s14, v0
	v_add_co_ci_u32_e32 v1, vcc_lo, s15, v1, vcc_lo
	s_delay_alu instid0(VALU_DEP_3) | instskip(NEXT) | instid1(VALU_DEP_1)
	v_lshlrev_b64_e32 v[2:3], 3, v[2:3]
	v_add_co_u32 v0, vcc_lo, v0, v2
	s_wait_alu 0xfffd
	s_delay_alu instid0(VALU_DEP_2) | instskip(NEXT) | instid1(VALU_DEP_2)
	v_add_co_ci_u32_e32 v1, vcc_lo, v1, v3, vcc_lo
	v_add_co_u32 v2, vcc_lo, v0, s4
	s_wait_alu 0xfffd
	s_delay_alu instid0(VALU_DEP_2) | instskip(SKIP_4) | instid1(VALU_DEP_2)
	v_add_co_ci_u32_e32 v3, vcc_lo, s5, v1, vcc_lo
	global_load_b64 v[0:1], v[0:1], off
	v_add_co_u32 v4, vcc_lo, v2, s2
	s_wait_alu 0xfffd
	v_add_co_ci_u32_e32 v5, vcc_lo, s3, v3, vcc_lo
	v_add_co_u32 v6, vcc_lo, v4, s4
	s_wait_alu 0xfffd
	s_delay_alu instid0(VALU_DEP_2) | instskip(NEXT) | instid1(VALU_DEP_2)
	v_add_co_ci_u32_e32 v7, vcc_lo, s5, v5, vcc_lo
	v_add_co_u32 v8, vcc_lo, v6, s2
	s_wait_alu 0xfffd
	s_delay_alu instid0(VALU_DEP_2)
	v_add_co_ci_u32_e32 v9, vcc_lo, s3, v7, vcc_lo
	s_clause 0x2
	global_load_b64 v[2:3], v[2:3], off
	global_load_b64 v[4:5], v[4:5], off
	;; [unrolled: 1-line block ×3, first 2 shown]
	v_add_co_u32 v10, vcc_lo, v8, s4
	s_wait_alu 0xfffd
	v_add_co_ci_u32_e32 v11, vcc_lo, s5, v9, vcc_lo
	global_load_b64 v[8:9], v[8:9], off
	v_add_co_u32 v12, vcc_lo, v10, s2
	s_wait_alu 0xfffd
	v_add_co_ci_u32_e32 v13, vcc_lo, s3, v11, vcc_lo
	global_load_b64 v[10:11], v[10:11], off
	v_add_co_u32 v14, vcc_lo, v12, s4
	s_wait_alu 0xfffd
	v_add_co_ci_u32_e32 v15, vcc_lo, s5, v13, vcc_lo
	global_load_b64 v[12:13], v[12:13], off
	v_add_co_u32 v16, vcc_lo, v14, s2
	s_wait_alu 0xfffd
	v_add_co_ci_u32_e32 v17, vcc_lo, s3, v15, vcc_lo
	global_load_b64 v[14:15], v[14:15], off
	v_add_co_u32 v18, vcc_lo, v16, s4
	s_wait_alu 0xfffd
	v_add_co_ci_u32_e32 v19, vcc_lo, s5, v17, vcc_lo
	global_load_b64 v[23:24], v[16:17], off
	v_add_co_u32 v16, vcc_lo, v18, s2
	s_wait_alu 0xfffd
	v_add_co_ci_u32_e32 v17, vcc_lo, s3, v19, vcc_lo
	global_load_b64 v[25:26], v[18:19], off
	v_add_co_u32 v18, vcc_lo, v16, s4
	s_wait_alu 0xfffd
	v_add_co_ci_u32_e32 v19, vcc_lo, s5, v17, vcc_lo
	global_load_b64 v[91:92], v108, s[8:9] offset:4680
	global_load_b64 v[27:28], v[16:17], off
	global_load_b64 v[97:98], v108, s[8:9] offset:10296
	global_load_b64 v[29:30], v[18:19], off
	v_add_nc_u32_e32 v19, 0xc00, v108
	v_add_nc_u32_e32 v21, 0x1400, v108
	;; [unrolled: 1-line block ×3, first 2 shown]
	s_load_b128 s[4:7], s[6:7], 0x0
	v_cmp_gt_u16_e32 vcc_lo, 0x6c, v20
	s_wait_loadcnt 0xd
	v_mul_f32_e32 v31, v1, v104
	v_add_nc_u32_e32 v18, 0x400, v108
	v_mul_f32_e32 v32, v0, v104
	s_delay_alu instid0(VALU_DEP_3) | instskip(NEXT) | instid1(VALU_DEP_2)
	v_fmac_f32_e32 v31, v0, v103
	v_fma_f32 v32, v1, v103, -v32
	s_wait_loadcnt 0xc
	v_dual_mul_f32 v0, v3, v102 :: v_dual_add_nc_u32 v105, 0x249, v107
	v_dual_mul_f32 v34, v2, v102 :: v_dual_add_nc_u32 v17, 0x1800, v108
	v_add_co_u32 v69, s2, 0x75, v107
	s_delay_alu instid0(VALU_DEP_3) | instskip(NEXT) | instid1(VALU_DEP_3)
	v_fmac_f32_e32 v0, v2, v101
	v_fma_f32 v1, v3, v101, -v34
	s_wait_loadcnt 0xb
	v_mul_f32_e32 v33, v5, v100
	s_wait_alu 0xf1ff
	v_add_co_ci_u32_e64 v70, null, 0, 0, s2
	v_add_co_u32 v66, s2, 0xea, v107
	v_mul_f32_e32 v35, v4, v100
	s_wait_loadcnt 0xa
	v_mul_f32_e32 v2, v7, v96
	v_mul_f32_e32 v3, v6, v96
	ds_store_b64 v108, v[0:1] offset:5616
	s_wait_loadcnt 0x9
	v_mul_f32_e32 v0, v9, v81
	s_wait_alu 0xf1ff
	v_add_co_ci_u32_e64 v16, null, 0, 0, s2
	v_dual_fmac_f32 v33, v4, v99 :: v_dual_add_nc_u32 v16, 0x2000, v108
	s_wait_loadcnt 0x8
	v_dual_mul_f32 v1, v8, v81 :: v_dual_mul_f32 v4, v11, v94
	v_fmac_f32_e32 v0, v8, v80
	s_wait_loadcnt 0x6
	v_mul_f32_e32 v8, v15, v90
	v_fma_f32 v3, v7, v95, -v3
	v_dual_mul_f32 v7, v12, v85 :: v_dual_fmac_f32 v2, v6, v95
	v_mul_f32_e32 v6, v13, v85
	v_fma_f32 v34, v5, v99, -v35
	v_mul_f32_e32 v5, v10, v94
	v_fma_f32 v1, v9, v80, -v1
	v_mul_f32_e32 v9, v14, v90
	v_fmac_f32_e32 v4, v10, v93
	s_wait_loadcnt 0x5
	v_mul_f32_e32 v10, v24, v87
	v_fma_f32 v5, v11, v93, -v5
	v_dual_fmac_f32 v6, v12, v84 :: v_dual_mul_f32 v11, v23, v87
	v_fma_f32 v7, v13, v84, -v7
	s_wait_loadcnt 0x4
	v_dual_fmac_f32 v8, v14, v89 :: v_dual_mul_f32 v13, v25, v83
	v_fma_f32 v9, v15, v89, -v9
	s_wait_loadcnt 0x2
	v_mul_f32_e32 v14, v28, v92
	v_mul_f32_e32 v15, v27, v92
	v_dual_fmac_f32 v10, v23, v86 :: v_dual_lshlrev_b32 v111, 4, v107
	s_wait_loadcnt 0x0
	v_mul_f32_e32 v23, v30, v98
	v_mul_f32_e32 v12, v26, v83
	v_fma_f32 v11, v24, v86, -v11
	v_dual_mul_f32 v24, v29, v98 :: v_dual_and_b32 v43, 1, v107
	v_fma_f32 v13, v26, v82, -v13
	v_fmac_f32_e32 v23, v29, v97
	v_fmac_f32_e32 v12, v25, v82
	v_dual_fmac_f32 v14, v27, v91 :: v_dual_lshlrev_b32 v115, 4, v69
	v_fma_f32 v15, v28, v91, -v15
	v_fma_f32 v24, v30, v97, -v24
	ds_store_2addr_b64 v108, v[31:32], v[33:34] offset1:117
	ds_store_2addr_b64 v17, v[2:3], v[4:5] offset0:51 offset1:168
	ds_store_2addr_b64 v18, v[0:1], v[6:7] offset0:106 offset1:223
	;; [unrolled: 1-line block ×4, first 2 shown]
	ds_store_b64 v108, v[23:24] offset:10296
	global_wb scope:SCOPE_SE
	s_wait_dscnt 0x0
	s_wait_kmcnt 0x0
	s_barrier_signal -1
	s_barrier_wait -1
	global_inv scope:SCOPE_SE
	ds_load_2addr_b64 v[0:3], v108 offset1:117
	ds_load_2addr_b64 v[4:7], v21 offset0:62 offset1:179
	v_add_nc_u32_e32 v23, 0x2400, v108
	ds_load_2addr_b64 v[8:11], v18 offset0:106 offset1:223
	ds_load_2addr_b64 v[12:15], v22 offset0:40 offset1:157
	;; [unrolled: 1-line block ×4, first 2 shown]
	v_lshlrev_b32_e32 v42, 1, v107
	v_add_co_u32 v68, null, 0x15f, v107
	v_and_b32_e32 v44, 1, v105
	v_lshlrev_b32_e32 v114, 4, v66
	s_delay_alu instid0(VALU_DEP_4)
	v_lshlrev_b32_e32 v67, 3, v42
	v_lshlrev_b32_e32 v45, 3, v43
	;; [unrolled: 1-line block ×3, first 2 shown]
	v_and_b32_e32 v46, 1, v68
	global_wb scope:SCOPE_SE
	s_wait_dscnt 0x0
	s_barrier_signal -1
	s_barrier_wait -1
	global_inv scope:SCOPE_SE
	s_load_b64 s[2:3], s[0:1], 0x38
	v_dual_sub_f32 v32, v0, v4 :: v_dual_sub_f32 v33, v1, v5
	v_dual_sub_f32 v4, v2, v6 :: v_dual_sub_f32 v5, v3, v7
	;; [unrolled: 1-line block ×3, first 2 shown]
	v_sub_f32_e32 v37, v9, v13
	v_dual_sub_f32 v12, v10, v14 :: v_dual_lshlrev_b32 v47, 3, v44
	v_dual_sub_f32 v13, v11, v15 :: v_dual_sub_f32 v40, v24, v28
	v_dual_sub_f32 v29, v27, v31 :: v_dual_sub_f32 v28, v26, v30
	v_fma_f32 v30, v0, 2.0, -v32
	v_fma_f32 v31, v1, 2.0, -v33
	v_and_b32_e32 v1, 1, v69
	v_fma_f32 v2, v2, 2.0, -v4
	v_fma_f32 v3, v3, 2.0, -v5
	v_fma_f32 v34, v8, 2.0, -v36
	v_fma_f32 v35, v9, 2.0, -v37
	v_fma_f32 v10, v10, 2.0, -v12
	v_fma_f32 v11, v11, 2.0, -v13
	v_fma_f32 v38, v24, 2.0, -v40
	v_fma_f32 v39, v25, 2.0, -v41
	v_fma_f32 v26, v26, 2.0, -v28
	v_fma_f32 v27, v27, 2.0, -v29
	ds_store_b128 v111, v[30:33]
	ds_store_b128 v115, v[2:5]
	;; [unrolled: 1-line block ×4, first 2 shown]
	ds_store_b128 v67, v[38:41] offset:7488
	ds_store_b128 v111, v[26:29] offset:9360
	global_wb scope:SCOPE_SE
	s_wait_dscnt 0x0
	s_wait_kmcnt 0x0
	s_barrier_signal -1
	s_barrier_wait -1
	global_inv scope:SCOPE_SE
	s_clause 0x1
	global_load_b64 v[72:73], v45, s[10:11]
	global_load_b64 v[74:75], v47, s[10:11]
	v_lshlrev_b32_e32 v0, 3, v46
	v_lshlrev_b32_e32 v71, 1, v69
	v_add_co_u32 v78, s0, s8, v108
	s_wait_alu 0xf1ff
	v_add_co_ci_u32_e64 v79, null, s9, 0, s0
	global_load_b64 v[76:77], v0, s[10:11]
	v_lshlrev_b32_e32 v0, 3, v1
	s_clause 0x1
	global_load_b32 v113, v47, s[10:11] offset:4
	global_load_b32 v112, v0, s[10:11]
	v_and_or_b32 v0, 0xfc, v42, v43
	v_and_or_b32 v9, 0x1fc, v71, v1
	v_lshlrev_b32_e32 v4, 1, v66
	s_delay_alu instid0(VALU_DEP_3)
	v_lshlrev_b32_e32 v122, 3, v0
	ds_load_2addr_b64 v[0:3], v21 offset0:62 offset1:179
	v_lshlrev_b32_e32 v5, 1, v68
	v_and_or_b32 v12, 0x3fc, v4, v43
	s_wait_loadcnt_dscnt 0x400
	v_mul_f32_e32 v38, v0, v73
	v_lshlrev_b32_e32 v125, 3, v9
	v_and_or_b32 v13, 0x3fc, v5, v46
	ds_load_2addr_b64 v[4:7], v22 offset0:40 offset1:157
	v_and_b32_e32 v32, 3, v107
	v_fmac_f32_e32 v38, v1, v72
	v_lshlrev_b32_e32 v8, 1, v105
	s_wait_loadcnt 0x3
	v_dual_mul_f32 v40, v2, v75 :: v_dual_lshlrev_b32 v121, 3, v13
	v_mul_f32_e32 v37, v1, v73
	v_mul_f32_e32 v39, v3, v75
	v_and_or_b32 v15, 0x5fc, v8, v44
	ds_load_2addr_b64 v[8:11], v23 offset0:18 offset1:135
	s_wait_loadcnt 0x0
	v_fmac_f32_e32 v40, v3, v112
	v_add_nc_u32_e32 v106, 0x3a8, v42
	v_lshlrev_b32_e32 v123, 3, v12
	v_and_b32_e32 v35, 3, v66
	v_fma_f32 v0, v0, v72, -v37
	v_fma_f32 v2, v2, v112, -v39
	s_wait_dscnt 0x1
	v_mul_f32_e32 v44, v6, v77
	v_mul_f32_e32 v41, v5, v73
	v_dual_mul_f32 v42, v4, v73 :: v_dual_lshlrev_b32 v33, 4, v32
	v_lshlrev_b32_e32 v117, 3, v15
	s_delay_alu instid0(VALU_DEP_3) | instskip(NEXT) | instid1(VALU_DEP_3)
	v_fma_f32 v4, v4, v72, -v41
	v_fmac_f32_e32 v42, v5, v72
	s_wait_dscnt 0x0
	v_mul_f32_e32 v45, v9, v73
	v_and_or_b32 v14, 0x7fc, v106, v43
	v_mul_f32_e32 v43, v7, v77
	v_mul_f32_e32 v46, v8, v73
	;; [unrolled: 1-line block ×3, first 2 shown]
	s_delay_alu instid0(VALU_DEP_4)
	v_dual_mul_f32 v48, v10, v113 :: v_dual_lshlrev_b32 v119, 3, v14
	ds_load_2addr_b64 v[12:15], v108 offset1:117
	ds_load_2addr_b64 v[24:27], v18 offset0:106 offset1:223
	ds_load_2addr_b64 v[28:31], v19 offset0:84 offset1:201
	v_and_b32_e32 v34, 3, v69
	v_fma_f32 v6, v6, v76, -v43
	v_fmac_f32_e32 v44, v7, v76
	v_fma_f32 v8, v8, v72, -v45
	v_fmac_f32_e32 v46, v9, v72
	;; [unrolled: 2-line block ×3, first 2 shown]
	global_wb scope:SCOPE_SE
	s_wait_dscnt 0x0
	s_barrier_signal -1
	s_barrier_wait -1
	global_inv scope:SCOPE_SE
	v_dual_sub_f32 v0, v12, v0 :: v_dual_sub_f32 v1, v13, v38
	v_sub_f32_e32 v9, v29, v46
	v_dual_sub_f32 v2, v14, v2 :: v_dual_sub_f32 v11, v31, v48
	v_sub_f32_e32 v3, v15, v40
	v_dual_sub_f32 v4, v24, v4 :: v_dual_sub_f32 v5, v25, v42
	v_dual_sub_f32 v7, v27, v44 :: v_dual_lshlrev_b32 v36, 4, v34
	v_sub_f32_e32 v6, v26, v6
	v_sub_f32_e32 v8, v28, v8
	;; [unrolled: 1-line block ×3, first 2 shown]
	v_fma_f32 v12, v12, 2.0, -v0
	v_fma_f32 v13, v13, 2.0, -v1
	;; [unrolled: 1-line block ×12, first 2 shown]
	ds_store_2addr_b64 v122, v[12:13], v[0:1] offset1:2
	ds_store_2addr_b64 v125, v[14:15], v[2:3] offset1:2
	;; [unrolled: 1-line block ×6, first 2 shown]
	global_wb scope:SCOPE_SE
	s_wait_dscnt 0x0
	s_barrier_signal -1
	s_barrier_wait -1
	global_inv scope:SCOPE_SE
	s_clause 0x1
	global_load_b128 v[0:3], v33, s[10:11] offset:16
	global_load_b128 v[12:15], v36, s[10:11] offset:16
	v_and_b32_e32 v33, 3, v68
	v_lshlrev_b32_e32 v4, 4, v35
	v_lshrrev_b32_e32 v24, 2, v107
	v_lshrrev_b32_e32 v25, 2, v69
	;; [unrolled: 1-line block ×3, first 2 shown]
	v_lshlrev_b32_e32 v5, 4, v33
	s_clause 0x1
	global_load_b128 v[8:11], v4, s[10:11] offset:16
	global_load_b128 v[4:7], v5, s[10:11] offset:16
	v_lshrrev_b32_e32 v27, 2, v68
	v_mul_u32_u24_e32 v20, 12, v24
	v_mul_u32_u24_e32 v36, 12, v25
	;; [unrolled: 1-line block ×3, first 2 shown]
	s_delay_alu instid0(VALU_DEP_4) | instskip(NEXT) | instid1(VALU_DEP_4)
	v_mul_u32_u24_e32 v38, 12, v27
	v_or_b32_e32 v20, v20, v32
	ds_load_2addr_b64 v[24:27], v19 offset0:84 offset1:201
	ds_load_2addr_b64 v[28:31], v22 offset0:40 offset1:157
	v_or_b32_e32 v36, v36, v34
	v_or_b32_e32 v37, v37, v35
	;; [unrolled: 1-line block ×3, first 2 shown]
	ds_load_2addr_b64 v[32:35], v21 offset0:62 offset1:179
	v_lshlrev_b32_e32 v126, 3, v20
	ds_load_2addr_b64 v[20:23], v23 offset0:18 offset1:135
	ds_load_2addr_b64 v[44:47], v108 offset1:117
	ds_load_2addr_b64 v[48:51], v18 offset0:106 offset1:223
	v_lshlrev_b32_e32 v124, 3, v36
	v_lshlrev_b32_e32 v120, 3, v37
	global_wb scope:SCOPE_SE
	s_wait_loadcnt_dscnt 0x0
	s_barrier_signal -1
	s_barrier_wait -1
	global_inv scope:SCOPE_SE
	v_mul_f32_e32 v37, v24, v1
	v_mul_f32_e32 v41, v26, v13
	;; [unrolled: 1-line block ×3, first 2 shown]
	v_dual_mul_f32 v39, v28, v3 :: v_dual_lshlrev_b32 v118, 3, v38
	s_delay_alu instid0(VALU_DEP_4)
	v_dual_fmac_f32 v37, v25, v0 :: v_dual_mul_f32 v40, v27, v13
	v_mul_f32_e32 v43, v30, v15
	v_dual_mul_f32 v38, v29, v3 :: v_dual_fmac_f32 v41, v27, v12
	v_dual_mul_f32 v53, v32, v9 :: v_dual_mul_f32 v42, v31, v15
	v_dual_mul_f32 v56, v20, v11 :: v_dual_mul_f32 v55, v35, v5
	v_mul_f32_e32 v57, v34, v5
	v_dual_mul_f32 v52, v33, v9 :: v_dual_mul_f32 v59, v22, v7
	v_mul_f32_e32 v54, v21, v11
	v_fma_f32 v24, v24, v0, -v36
	v_dual_mul_f32 v58, v23, v7 :: v_dual_fmac_f32 v39, v29, v2
	v_fma_f32 v25, v26, v12, -v40
	v_fmac_f32_e32 v43, v31, v14
	v_fma_f32 v26, v28, v2, -v38
	v_fmac_f32_e32 v53, v33, v8
	;; [unrolled: 2-line block ×4, first 2 shown]
	v_add_f32_e32 v23, v44, v24
	v_fma_f32 v20, v20, v10, -v54
	v_fma_f32 v22, v22, v6, -v58
	v_add_f32_e32 v31, v45, v37
	v_dual_fmac_f32 v56, v21, v10 :: v_dual_add_f32 v33, v46, v25
	v_fma_f32 v21, v34, v4, -v55
	v_dual_add_f32 v29, v24, v26 :: v_dual_sub_f32 v30, v37, v39
	v_dual_add_f32 v32, v37, v39 :: v_dual_add_f32 v109, v51, v57
	v_dual_sub_f32 v24, v24, v26 :: v_dual_sub_f32 v35, v41, v43
	v_dual_add_f32 v36, v47, v41 :: v_dual_add_f32 v37, v41, v43
	v_add_f32_e32 v34, v25, v27
	v_dual_add_f32 v42, v28, v20 :: v_dual_add_f32 v65, v21, v22
	v_dual_add_f32 v58, v49, v53 :: v_dual_add_f32 v41, v31, v39
	s_delay_alu instid0(VALU_DEP_4) | instskip(NEXT) | instid1(VALU_DEP_2)
	v_dual_add_f32 v62, v53, v56 :: v_dual_add_f32 v55, v36, v43
	v_dual_add_f32 v110, v57, v59 :: v_dual_add_f32 v61, v58, v56
	v_dual_sub_f32 v25, v25, v27 :: v_dual_add_f32 v38, v48, v28
	v_dual_sub_f32 v63, v53, v56 :: v_dual_add_f32 v64, v50, v21
	v_dual_sub_f32 v28, v28, v20 :: v_dual_sub_f32 v21, v21, v22
	v_dual_sub_f32 v127, v57, v59 :: v_dual_add_f32 v40, v23, v26
	v_dual_add_f32 v54, v33, v27 :: v_dual_fmac_f32 v51, -0.5, v110
	v_fma_f32 v52, -0.5, v29, v44
	v_fma_f32 v53, -0.5, v32, v45
	v_fmac_f32_e32 v47, -0.5, v37
	v_fma_f32 v46, -0.5, v34, v46
	v_fma_f32 v56, -0.5, v42, v48
	;; [unrolled: 1-line block ×4, first 2 shown]
	v_dual_add_f32 v60, v38, v20 :: v_dual_add_f32 v59, v109, v59
	v_add_f32_e32 v58, v64, v22
	v_fmamk_f32 v42, v30, 0x3f5db3d7, v52
	v_dual_fmac_f32 v52, 0xbf5db3d7, v30 :: v_dual_fmamk_f32 v43, v24, 0xbf5db3d7, v53
	v_dual_fmac_f32 v53, 0x3f5db3d7, v24 :: v_dual_fmamk_f32 v44, v35, 0x3f5db3d7, v46
	;; [unrolled: 1-line block ×7, first 2 shown]
	v_fmac_f32_e32 v51, 0x3f5db3d7, v21
	ds_store_2addr_b64 v126, v[40:41], v[42:43] offset1:4
	ds_store_b64 v126, v[52:53] offset:64
	ds_store_2addr_b64 v124, v[54:55], v[44:45] offset1:4
	ds_store_b64 v124, v[46:47] offset:64
	;; [unrolled: 2-line block ×4, first 2 shown]
	global_wb scope:SCOPE_SE
	s_wait_dscnt 0x0
	s_barrier_signal -1
	s_barrier_wait -1
	global_inv scope:SCOPE_SE
                                        ; implicit-def: $vgpr64
	s_and_saveexec_b32 s0, vcc_lo
	s_cbranch_execz .LBB0_3
; %bb.2:
	v_add_nc_u32_e32 v20, 0x1000, v108
	ds_load_2addr_b64 v[40:43], v108 offset1:108
	ds_load_2addr_b64 v[52:55], v18 offset0:88 offset1:196
	ds_load_2addr_b64 v[44:47], v19 offset0:48 offset1:156
	;; [unrolled: 1-line block ×5, first 2 shown]
	ds_load_b64 v[64:65], v108 offset:10368
.LBB0_3:
	s_wait_alu 0xfffe
	s_or_b32 exec_lo, exec_lo, s0
	v_and_b32_e32 v16, 0xff, v107
	s_delay_alu instid0(VALU_DEP_1) | instskip(NEXT) | instid1(VALU_DEP_1)
	v_mul_lo_u16 v16, 0xab, v16
	v_lshrrev_b16 v110, 11, v16
	s_delay_alu instid0(VALU_DEP_1) | instskip(SKIP_1) | instid1(VALU_DEP_2)
	v_mul_lo_u16 v16, v110, 12
	v_and_b32_e32 v110, 0xffff, v110
	v_sub_nc_u16 v16, v107, v16
	s_delay_alu instid0(VALU_DEP_1) | instskip(NEXT) | instid1(VALU_DEP_1)
	v_and_b32_e32 v109, 0xff, v16
	v_mad_co_u64_u32 v[36:37], null, 0x60, v109, s[10:11]
	s_clause 0x5
	global_load_b128 v[28:31], v[36:37], off offset:80
	global_load_b128 v[24:27], v[36:37], off offset:96
	;; [unrolled: 1-line block ×6, first 2 shown]
	global_wb scope:SCOPE_SE
	s_wait_loadcnt_dscnt 0x0
	s_barrier_signal -1
	s_barrier_wait -1
	global_inv scope:SCOPE_SE
	v_mul_f32_e32 v130, v43, v29
	v_mul_f32_e32 v141, v42, v29
	v_dual_mul_f32 v135, v60, v19 :: v_dual_mul_f32 v134, v62, v21
	v_dual_mul_f32 v150, v57, v23 :: v_dual_mul_f32 v151, v59, v33
	s_delay_alu instid0(VALU_DEP_3)
	v_dual_mul_f32 v154, v65, v39 :: v_dual_fmac_f32 v141, v43, v28
	v_dual_mul_f32 v131, v53, v31 :: v_dual_mul_f32 v140, v55, v25
	v_dual_mul_f32 v139, v52, v31 :: v_dual_mul_f32 v138, v54, v25
	;; [unrolled: 1-line block ×7, first 2 shown]
	v_dual_mul_f32 v127, v64, v39 :: v_dual_fmac_f32 v138, v55, v24
	v_fma_f32 v147, v42, v28, -v130
	v_dual_fmac_f32 v135, v61, v18 :: v_dual_fmac_f32 v128, v51, v36
	v_fma_f32 v61, v58, v32, -v151
	v_fma_f32 v58, v64, v38, -v154
	v_dual_mul_f32 v142, v45, v27 :: v_dual_mul_f32 v143, v47, v17
	v_fma_f32 v146, v52, v30, -v131
	v_dual_fmac_f32 v137, v45, v26 :: v_dual_fmac_f32 v134, v63, v20
	v_dual_fmac_f32 v129, v59, v32 :: v_dual_fmac_f32 v132, v49, v34
	v_fmac_f32_e32 v127, v65, v38
	v_fma_f32 v59, v50, v36, -v153
	v_sub_f32_e32 v164, v147, v58
	v_dual_fmac_f32 v139, v53, v30 :: v_dual_fmac_f32 v136, v47, v16
	v_fma_f32 v145, v54, v24, -v140
	v_fma_f32 v144, v44, v26, -v142
	;; [unrolled: 1-line block ×5, first 2 shown]
	v_add_f32_e32 v47, v146, v59
	v_sub_f32_e32 v160, v138, v132
	v_dual_add_f32 v46, v147, v58 :: v_dual_add_f32 v55, v141, v127
	v_dual_sub_f32 v158, v141, v127 :: v_dual_add_f32 v49, v139, v128
	v_dual_sub_f32 v157, v135, v134 :: v_dual_mul_f32 v156, 0xbeedf032, v164
	v_fma_f32 v60, v48, v34, -v152
	v_dual_sub_f32 v159, v139, v128 :: v_dual_add_f32 v50, v144, v61
	s_delay_alu instid0(VALU_DEP_4) | instskip(NEXT) | instid1(VALU_DEP_4)
	v_dual_sub_f32 v167, v142, v140 :: v_dual_mul_f32 v152, 0xbeedf032, v158
	v_fma_f32 v43, 0x3f62ad3f, v55, -v156
	v_dual_fmac_f32 v133, v57, v22 :: v_dual_sub_f32 v166, v146, v59
	v_sub_f32_e32 v168, v145, v60
	s_delay_alu instid0(VALU_DEP_3)
	v_dual_mul_f32 v148, 0xbf7e222b, v160 :: v_dual_add_f32 v43, v41, v43
	v_fmamk_f32 v42, v46, 0x3f62ad3f, v152
	v_mul_f32_e32 v149, 0xbf52af12, v159
	v_fma_f32 v62, v56, v22, -v150
	v_dual_add_f32 v48, v145, v60 :: v_dual_sub_f32 v163, v144, v61
	v_dual_add_f32 v51, v138, v132 :: v_dual_add_f32 v54, v137, v129
	s_delay_alu instid0(VALU_DEP_3)
	v_dual_sub_f32 v161, v137, v129 :: v_dual_add_f32 v52, v143, v62
	v_add_f32_e32 v57, v136, v133
	v_add_f32_e32 v42, v40, v42
	v_fmamk_f32 v44, v47, 0x3f116cb1, v149
	v_mul_f32_e32 v153, 0xbf7e222b, v168
	v_dual_sub_f32 v165, v143, v62 :: v_dual_sub_f32 v162, v136, v133
	v_dual_mul_f32 v65, 0xbf6f5d39, v161 :: v_dual_mul_f32 v150, 0xbf6f5d39, v163
	s_delay_alu instid0(VALU_DEP_4) | instskip(NEXT) | instid1(VALU_DEP_4)
	v_add_f32_e32 v42, v44, v42
	v_fma_f32 v131, 0x3df6dbef, v51, -v153
	v_fmamk_f32 v130, v48, 0x3df6dbef, v148
	v_mul_f32_e32 v63, 0xbf29c268, v162
	v_mul_f32_e32 v151, 0xbf29c268, v165
	v_fmamk_f32 v44, v50, 0xbeb58ec6, v65
	v_mul_f32_e32 v155, 0xbf52af12, v166
	v_add_f32_e32 v42, v130, v42
	v_dual_fmamk_f32 v130, v52, 0xbf3f9e67, v63 :: v_dual_add_f32 v53, v142, v140
	v_add_f32_e32 v56, v135, v134
	s_delay_alu instid0(VALU_DEP_3) | instskip(NEXT) | instid1(VALU_DEP_1)
	v_add_f32_e32 v42, v44, v42
	v_add_f32_e32 v42, v130, v42
	v_lshlrev_b32_e32 v130, 4, v105
	v_fma_f32 v45, 0x3f116cb1, v49, -v155
	s_delay_alu instid0(VALU_DEP_1) | instskip(SKIP_1) | instid1(VALU_DEP_2)
	v_add_f32_e32 v43, v45, v43
	v_fma_f32 v45, 0xbeb58ec6, v54, -v150
	v_add_f32_e32 v43, v131, v43
	v_fma_f32 v131, 0xbf3f9e67, v57, -v151
	s_delay_alu instid0(VALU_DEP_2) | instskip(NEXT) | instid1(VALU_DEP_1)
	v_dual_add_f32 v43, v45, v43 :: v_dual_mul_f32 v64, 0xbe750f2a, v157
	v_dual_add_f32 v43, v131, v43 :: v_dual_fmamk_f32 v44, v53, 0xbf788fa5, v64
	v_dual_mul_f32 v154, 0xbe750f2a, v167 :: v_dual_lshlrev_b32 v131, 3, v106
	s_delay_alu instid0(VALU_DEP_2) | instskip(NEXT) | instid1(VALU_DEP_2)
	v_add_f32_e32 v105, v44, v42
	v_fma_f32 v45, 0xbf788fa5, v56, -v154
	s_delay_alu instid0(VALU_DEP_1)
	v_add_f32_e32 v106, v45, v43
	s_and_saveexec_b32 s0, vcc_lo
	s_cbranch_execz .LBB0_5
; %bb.4:
	v_dual_mul_f32 v173, 0x3df6dbef, v55 :: v_dual_mul_f32 v180, 0x3df6dbef, v48
	v_mul_f32_e32 v191, 0xbe750f2a, v159
	v_mul_f32_e32 v178, 0xbf788fa5, v49
	v_dual_mul_f32 v181, 0xbeb58ec6, v51 :: v_dual_mul_f32 v184, 0xbeb58ec6, v54
	v_dual_mul_f32 v194, 0xbf3f9e67, v56 :: v_dual_mul_f32 v169, 0xbf3f9e67, v55
	s_delay_alu instid0(VALU_DEP_4)
	v_fmamk_f32 v45, v47, 0xbf788fa5, v191
	v_fmamk_f32 v42, v164, 0x3f7e222b, v173
	v_mul_f32_e32 v177, 0x3f116cb1, v47
	v_fmamk_f32 v44, v168, 0xbf6f5d39, v181
	v_fmamk_f32 v43, v166, 0x3e750f2a, v178
	;; [unrolled: 1-line block ×3, first 2 shown]
	v_dual_add_f32 v42, v41, v42 :: v_dual_fmac_f32 v169, 0xbf29c268, v164
	v_mul_f32_e32 v196, 0xbf52af12, v162
	v_mul_f32_e32 v179, 0x3f116cb1, v49
	;; [unrolled: 1-line block ×3, first 2 shown]
	s_delay_alu instid0(VALU_DEP_4) | instskip(NEXT) | instid1(VALU_DEP_4)
	v_dual_add_f32 v42, v43, v42 :: v_dual_add_f32 v169, v41, v169
	v_dual_mul_f32 v174, 0x3f116cb1, v51 :: v_dual_fmamk_f32 v197, v52, 0x3f116cb1, v196
	v_mul_f32_e32 v195, 0x3eedf032, v161
	v_mul_f32_e32 v185, 0x3f62ad3f, v54
	v_dual_mul_f32 v182, 0x3df6dbef, v51 :: v_dual_mul_f32 v171, 0x3df6dbef, v49
	v_add_f32_e32 v42, v44, v42
	v_fmamk_f32 v44, v46, 0x3df6dbef, v188
	s_delay_alu instid0(VALU_DEP_4) | instskip(SKIP_2) | instid1(VALU_DEP_4)
	v_dual_fmamk_f32 v43, v163, 0xbeedf032, v185 :: v_dual_add_f32 v170, v41, v170
	v_mul_f32_e32 v189, 0x3f116cb1, v57
	v_dual_mul_f32 v203, 0xbe750f2a, v164 :: v_dual_mul_f32 v212, 0xbe750f2a, v158
	v_dual_mul_f32 v183, 0xbeb58ec6, v50 :: v_dual_add_f32 v44, v40, v44
	s_delay_alu instid0(VALU_DEP_4) | instskip(NEXT) | instid1(VALU_DEP_3)
	v_dual_add_f32 v42, v43, v42 :: v_dual_mul_f32 v193, 0x3f6f5d39, v160
	v_fmamk_f32 v206, v55, 0xbf788fa5, v203
	v_mul_f32_e32 v207, 0x3eedf032, v166
	v_fma_f32 v214, 0xbf788fa5, v46, -v212
	v_fmamk_f32 v172, v166, 0xbf7e222b, v171
	v_fmamk_f32 v43, v165, 0x3f52af12, v189
	v_dual_mul_f32 v208, 0x3eedf032, v162 :: v_dual_mul_f32 v215, 0x3eedf032, v159
	v_add_f32_e32 v206, v41, v206
	s_delay_alu instid0(VALU_DEP_3)
	v_dual_fmamk_f32 v209, v49, 0x3f62ad3f, v207 :: v_dual_add_f32 v42, v43, v42
	v_dual_add_f32 v43, v45, v44 :: v_dual_fmamk_f32 v44, v48, 0xbeb58ec6, v193
	v_mul_f32_e32 v198, 0xbf29c268, v158
	v_mul_f32_e32 v201, 0x3f7e222b, v159
	v_fmac_f32_e32 v171, 0x3f7e222b, v166
	v_fmac_f32_e32 v181, 0x3f6f5d39, v168
	v_dual_add_f32 v43, v44, v43 :: v_dual_fmamk_f32 v44, v50, 0x3f62ad3f, v195
	v_fmamk_f32 v200, v46, 0xbf3f9e67, v198
	v_mul_f32_e32 v199, 0x3f62ad3f, v57
	v_add_f32_e32 v169, v171, v169
	v_mul_f32_e32 v204, 0x3e750f2a, v161
	v_add_f32_e32 v44, v44, v43
	v_fma_f32 v198, 0xbf3f9e67, v46, -v198
	v_fmac_f32_e32 v173, 0xbf7e222b, v164
	v_mul_f32_e32 v216, 0xbf29c268, v160
	v_fma_f32 v188, 0x3df6dbef, v46, -v188
	v_dual_add_f32 v44, v197, v44 :: v_dual_fmamk_f32 v45, v167, 0x3f29c268, v194
	v_mul_f32_e32 v197, 0xbf29c268, v157
	v_add_f32_e32 v173, v41, v173
	s_delay_alu instid0(VALU_DEP_4) | instskip(NEXT) | instid1(VALU_DEP_4)
	v_dual_fmac_f32 v185, 0x3eedf032, v163 :: v_dual_add_f32 v188, v40, v188
	v_add_f32_e32 v43, v45, v42
	v_add_f32_e32 v42, v172, v170
	v_fmamk_f32 v45, v168, 0x3f52af12, v174
	v_mul_f32_e32 v172, 0xbf788fa5, v54
	v_fmamk_f32 v170, v53, 0xbf3f9e67, v197
	v_dual_fmac_f32 v174, 0xbf52af12, v168 :: v_dual_fmac_f32 v189, 0xbf52af12, v165
	s_delay_alu instid0(VALU_DEP_3) | instskip(SKIP_1) | instid1(VALU_DEP_3)
	v_dual_add_f32 v42, v45, v42 :: v_dual_fmamk_f32 v45, v163, 0xbe750f2a, v172
	v_mul_f32_e32 v190, 0xbf788fa5, v53
	v_add_f32_e32 v169, v174, v169
	v_mul_f32_e32 v211, 0xbf6f5d39, v157
	v_fmac_f32_e32 v178, 0xbe750f2a, v166
	v_dual_add_f32 v45, v45, v42 :: v_dual_add_f32 v42, v170, v44
	v_add_f32_e32 v44, v40, v200
	v_fmamk_f32 v170, v47, 0x3df6dbef, v201
	v_mul_f32_e32 v200, 0xbf52af12, v160
	v_dual_fmamk_f32 v213, v53, 0xbeb58ec6, v211 :: v_dual_add_f32 v174, v40, v198
	s_delay_alu instid0(VALU_DEP_3) | instskip(NEXT) | instid1(VALU_DEP_3)
	v_dual_mul_f32 v217, 0x3f52af12, v161 :: v_dual_add_f32 v44, v170, v44
	v_fmamk_f32 v170, v48, 0x3f116cb1, v200
	v_dual_mul_f32 v224, 0x3e750f2a, v162 :: v_dual_add_f32 v141, v41, v141
	v_dual_mul_f32 v175, 0x3f62ad3f, v46 :: v_dual_mul_f32 v176, 0x3f62ad3f, v55
	s_delay_alu instid0(VALU_DEP_3)
	v_add_f32_e32 v44, v170, v44
	v_fmamk_f32 v170, v50, 0xbf788fa5, v204
	v_fma_f32 v198, 0x3df6dbef, v47, -v201
	v_fma_f32 v191, 0xbf788fa5, v47, -v191
	v_fmac_f32_e32 v194, 0xbf29c268, v167
	v_dual_mul_f32 v186, 0xbf3f9e67, v52 :: v_dual_mul_f32 v187, 0xbf3f9e67, v57
	v_add_f32_e32 v44, v170, v44
	v_fmamk_f32 v170, v52, 0x3f62ad3f, v208
	v_add_f32_e32 v174, v198, v174
	s_delay_alu instid0(VALU_DEP_4) | instskip(SKIP_4) | instid1(VALU_DEP_4)
	v_sub_f32_e32 v63, v186, v63
	v_mul_f32_e32 v221, 0xbf7e222b, v161
	v_add_f32_e32 v173, v178, v173
	v_dual_add_f32 v44, v170, v44 :: v_dual_add_f32 v139, v141, v139
	v_add_f32_e32 v141, v40, v147
	v_fma_f32 v223, 0x3df6dbef, v50, -v221
	s_delay_alu instid0(VALU_DEP_4) | instskip(NEXT) | instid1(VALU_DEP_4)
	v_add_f32_e32 v173, v181, v173
	v_dual_add_f32 v44, v213, v44 :: v_dual_add_f32 v213, v40, v214
	v_fma_f32 v214, 0x3f62ad3f, v47, -v215
	v_add_f32_e32 v147, v156, v176
	s_delay_alu instid0(VALU_DEP_4) | instskip(SKIP_1) | instid1(VALU_DEP_4)
	v_dual_add_f32 v185, v185, v173 :: v_dual_add_f32 v138, v139, v138
	v_fmac_f32_e32 v221, 0x3df6dbef, v50
	v_add_f32_e32 v213, v214, v213
	v_fma_f32 v214, 0xbf3f9e67, v48, -v216
	s_delay_alu instid0(VALU_DEP_4) | instskip(SKIP_2) | instid1(VALU_DEP_4)
	v_add_f32_e32 v185, v189, v185
	v_fma_f32 v189, 0x3f62ad3f, v50, -v195
	v_dual_fmac_f32 v216, 0xbf3f9e67, v48 :: v_dual_add_f32 v139, v141, v146
	v_add_f32_e32 v213, v214, v213
	v_fma_f32 v214, 0x3f116cb1, v50, -v217
	v_fmac_f32_e32 v172, 0x3e750f2a, v163
	v_mul_f32_e32 v219, 0xbf6f5d39, v162
	v_fmamk_f32 v202, v165, 0xbeedf032, v199
	v_add_f32_e32 v141, v41, v147
	v_add_f32_e32 v171, v214, v213
	v_mul_f32_e32 v214, 0x3f7e222b, v157
	v_add_f32_e32 v172, v172, v169
	v_fma_f32 v213, 0xbeb58ec6, v52, -v219
	v_dual_mul_f32 v192, 0xbf788fa5, v56 :: v_dual_add_f32 v45, v202, v45
	s_delay_alu instid0(VALU_DEP_4) | instskip(NEXT) | instid1(VALU_DEP_3)
	v_fma_f32 v201, 0x3df6dbef, v53, -v214
	v_dual_mul_f32 v202, 0xbeb58ec6, v56 :: v_dual_add_f32 v171, v213, v171
	v_dual_add_f32 v146, v155, v179 :: v_dual_mul_f32 v161, 0x3f29c268, v161
	s_delay_alu instid0(VALU_DEP_2) | instskip(NEXT) | instid1(VALU_DEP_3)
	v_dual_sub_f32 v64, v190, v64 :: v_dual_fmamk_f32 v205, v167, 0x3f6f5d39, v202
	v_add_f32_e32 v169, v201, v171
	v_fma_f32 v198, 0x3f116cb1, v48, -v200
	v_mul_f32_e32 v213, 0xbf6f5d39, v164
	s_delay_alu instid0(VALU_DEP_4) | instskip(SKIP_1) | instid1(VALU_DEP_3)
	v_dual_mul_f32 v200, 0x3f29c268, v166 :: v_dual_add_f32 v45, v205, v45
	v_add_f32_e32 v205, v209, v206
	v_dual_add_f32 v174, v198, v174 :: v_dual_fmamk_f32 v171, v55, 0xbeb58ec6, v213
	v_dual_mul_f32 v166, 0xbf6f5d39, v166 :: v_dual_add_f32 v141, v146, v141
	v_add_f32_e32 v137, v138, v137
	s_delay_alu instid0(VALU_DEP_3)
	v_dual_fmac_f32 v214, 0x3df6dbef, v53 :: v_dual_add_f32 v171, v41, v171
	v_fma_f32 v198, 0xbf788fa5, v50, -v204
	v_fmac_f32_e32 v199, 0x3eedf032, v165
	v_mul_f32_e32 v204, 0xbf7e222b, v163
	v_add_f32_e32 v136, v137, v136
	v_add_f32_e32 v138, v139, v145
	;; [unrolled: 1-line block ×3, first 2 shown]
	v_fma_f32 v198, 0x3f62ad3f, v52, -v208
	v_dual_add_f32 v172, v199, v172 :: v_dual_fmamk_f32 v199, v49, 0xbf3f9e67, v200
	v_mul_f32_e32 v201, 0x3eedf032, v168
	v_fma_f32 v208, 0xbeb58ec6, v53, -v211
	s_delay_alu instid0(VALU_DEP_4) | instskip(NEXT) | instid1(VALU_DEP_4)
	v_add_f32_e32 v174, v198, v174
	v_dual_mul_f32 v198, 0xbf6f5d39, v158 :: v_dual_add_f32 v171, v199, v171
	v_sub_f32_e32 v139, v175, v152
	v_add_f32_e32 v135, v136, v135
	v_add_f32_e32 v137, v138, v144
	s_delay_alu instid0(VALU_DEP_4) | instskip(SKIP_4) | instid1(VALU_DEP_4)
	v_fma_f32 v211, 0xbeb58ec6, v46, -v198
	v_fmamk_f32 v199, v51, 0x3f62ad3f, v201
	v_mul_f32_e32 v210, 0xbf29c268, v168
	v_dual_mul_f32 v168, 0xbe750f2a, v168 :: v_dual_add_f32 v145, v153, v182
	v_add_f32_e32 v138, v40, v139
	v_add_f32_e32 v171, v199, v171
	v_fmamk_f32 v199, v54, 0x3df6dbef, v204
	v_dual_sub_f32 v139, v177, v149 :: v_dual_add_f32 v134, v135, v134
	v_dual_add_f32 v136, v137, v143 :: v_dual_add_f32 v137, v150, v184
	s_delay_alu instid0(VALU_DEP_3) | instskip(SKIP_4) | instid1(VALU_DEP_4)
	v_add_f32_e32 v199, v199, v171
	v_fmamk_f32 v206, v51, 0xbf3f9e67, v210
	v_mul_f32_e32 v209, 0x3f52af12, v163
	v_add_f32_e32 v171, v208, v174
	v_dual_add_f32 v174, v40, v211 :: v_dual_mul_f32 v211, 0x3eedf032, v160
	v_add_f32_e32 v170, v206, v205
	s_delay_alu instid0(VALU_DEP_4) | instskip(SKIP_3) | instid1(VALU_DEP_4)
	v_fmamk_f32 v205, v54, 0x3f116cb1, v209
	v_mul_f32_e32 v206, 0xbf6f5d39, v165
	v_dual_mul_f32 v160, 0xbe750f2a, v160 :: v_dual_add_f32 v141, v145, v141
	v_add_f32_e32 v138, v139, v138
	v_add_f32_e32 v170, v205, v170
	s_delay_alu instid0(VALU_DEP_4) | instskip(SKIP_2) | instid1(VALU_DEP_3)
	v_fmamk_f32 v205, v57, 0xbeb58ec6, v206
	v_dual_fmac_f32 v202, 0xbf6f5d39, v167 :: v_dual_sub_f32 v139, v180, v148
	v_dual_add_f32 v135, v136, v142 :: v_dual_add_f32 v136, v137, v141
	v_dual_add_f32 v170, v205, v170 :: v_dual_mul_f32 v205, 0x3f7e222b, v167
	s_delay_alu instid0(VALU_DEP_3) | instskip(SKIP_2) | instid1(VALU_DEP_4)
	v_add_f32_e32 v172, v202, v172
	v_mul_f32_e32 v202, 0x3e750f2a, v165
	v_mul_f32_e32 v165, 0x3f7e222b, v165
	v_dual_add_f32 v137, v151, v187 :: v_dual_fmamk_f32 v218, v56, 0x3df6dbef, v205
	v_dual_add_f32 v138, v139, v138 :: v_dual_add_f32 v133, v134, v133
	s_delay_alu instid0(VALU_DEP_4) | instskip(SKIP_1) | instid1(VALU_DEP_4)
	v_fmamk_f32 v220, v57, 0xbf788fa5, v202
	v_add_f32_e32 v134, v135, v140
	v_add_f32_e32 v170, v218, v170
	v_mul_f32_e32 v218, 0x3f29c268, v159
	v_mul_f32_e32 v159, 0xbf6f5d39, v159
	v_add_f32_e32 v199, v220, v199
	v_mul_f32_e32 v220, 0x3f52af12, v167
	v_mul_f32_e32 v167, 0x3eedf032, v167
	v_fma_f32 v208, 0xbf3f9e67, v47, -v218
	v_dual_add_f32 v135, v137, v136 :: v_dual_fmac_f32 v212, 0xbf788fa5, v46
	s_delay_alu instid0(VALU_DEP_4) | instskip(SKIP_1) | instid1(VALU_DEP_4)
	v_fmamk_f32 v222, v56, 0x3f116cb1, v220
	v_add_f32_e32 v136, v154, v192
	v_add_f32_e32 v174, v208, v174
	v_fma_f32 v208, 0x3f62ad3f, v48, -v211
	v_sub_f32_e32 v65, v183, v65
	v_add_f32_e32 v129, v133, v129
	v_dual_add_f32 v133, v134, v62 :: v_dual_add_f32 v62, v136, v135
	s_delay_alu instid0(VALU_DEP_4)
	v_add_f32_e32 v208, v208, v174
	v_add_f32_e32 v174, v222, v199
	v_fma_f32 v199, 0xbf788fa5, v52, -v224
	v_add_f32_e32 v65, v65, v138
	v_add_f32_e32 v129, v129, v132
	;; [unrolled: 1-line block ×3, first 2 shown]
	v_mul_f32_e32 v208, 0x3f52af12, v157
	v_add_f32_e32 v61, v133, v61
	v_add_f32_e32 v63, v63, v65
	s_delay_alu instid0(VALU_DEP_4) | instskip(NEXT) | instid1(VALU_DEP_4)
	v_dual_add_f32 v65, v129, v128 :: v_dual_add_f32 v178, v199, v178
	v_fma_f32 v181, 0x3f116cb1, v53, -v208
	s_delay_alu instid0(VALU_DEP_4) | instskip(SKIP_1) | instid1(VALU_DEP_4)
	v_add_f32_e32 v128, v61, v60
	v_fma_f32 v132, 0xbf788fa5, v55, -v203
	v_add_f32_e32 v60, v65, v127
	v_fma_f32 v127, 0xbf3f9e67, v49, -v200
	v_dual_add_f32 v173, v181, v178 :: v_dual_mul_f32 v178, 0xbf52af12, v164
	v_add_f32_e32 v164, v191, v188
	v_fma_f32 v181, 0xbeb58ec6, v48, -v193
	v_mul_f32_e32 v191, 0xbf52af12, v158
	s_delay_alu instid0(VALU_DEP_4) | instskip(SKIP_1) | instid1(VALU_DEP_4)
	v_dual_add_f32 v59, v128, v59 :: v_dual_fmamk_f32 v188, v55, 0x3f116cb1, v178
	v_fmac_f32_e32 v211, 0x3f62ad3f, v48
	v_dual_add_f32 v181, v181, v164 :: v_dual_add_f32 v164, v194, v185
	v_fma_f32 v193, 0xbf3f9e67, v53, -v197
	s_delay_alu instid0(VALU_DEP_4) | instskip(SKIP_1) | instid1(VALU_DEP_4)
	v_add_f32_e32 v185, v41, v188
	v_fmamk_f32 v188, v49, 0xbeb58ec6, v166
	v_add_f32_e32 v181, v189, v181
	v_fma_f32 v189, 0x3f116cb1, v52, -v196
	v_dual_add_f32 v65, v40, v212 :: v_dual_fmac_f32 v218, 0xbf3f9e67, v47
	s_delay_alu instid0(VALU_DEP_4) | instskip(NEXT) | instid1(VALU_DEP_3)
	v_dual_add_f32 v158, v188, v185 :: v_dual_fmamk_f32 v185, v51, 0xbf788fa5, v168
	v_dual_mul_f32 v188, 0x3f29c268, v163 :: v_dual_add_f32 v163, v189, v181
	v_fma_f32 v181, 0x3f116cb1, v46, -v191
	v_fma_f32 v189, 0xbeb58ec6, v47, -v159
	s_delay_alu instid0(VALU_DEP_3) | instskip(SKIP_1) | instid1(VALU_DEP_4)
	v_dual_add_f32 v158, v185, v158 :: v_dual_fmamk_f32 v185, v54, 0xbf3f9e67, v188
	v_dual_add_f32 v129, v41, v132 :: v_dual_fmac_f32 v198, 0xbeb58ec6, v46
	v_add_f32_e32 v181, v40, v181
	v_fma_f32 v132, 0x3f62ad3f, v49, -v207
	s_delay_alu instid0(VALU_DEP_4)
	v_add_f32_e32 v158, v185, v158
	v_fmamk_f32 v185, v57, 0x3df6dbef, v165
	v_fmac_f32_e32 v159, 0xbeb58ec6, v47
	v_add_f32_e32 v181, v189, v181
	v_fma_f32 v189, 0xbf788fa5, v48, -v160
	v_fma_f32 v49, 0xbeb58ec6, v49, -v166
	v_dual_add_f32 v158, v185, v158 :: v_dual_fmamk_f32 v185, v56, 0x3f62ad3f, v167
	v_add_f32_e32 v163, v193, v163
	s_delay_alu instid0(VALU_DEP_4)
	v_add_f32_e32 v181, v189, v181
	v_fma_f32 v189, 0xbf3f9e67, v50, -v161
	v_fmac_f32_e32 v161, 0xbf3f9e67, v50
	v_add_f32_e32 v158, v185, v158
	v_add_f32_e32 v59, v59, v58
	v_fma_f32 v58, 0xbeb58ec6, v55, -v213
	v_add_f32_e32 v181, v189, v181
	v_mul_f32_e32 v189, 0x3eedf032, v157
	v_add_f32_e32 v61, v64, v63
	v_fma_f32 v64, 0xbf3f9e67, v51, -v210
	v_add_f32_e32 v58, v41, v58
	v_fma_f32 v55, 0x3f116cb1, v55, -v178
	v_fma_f32 v157, 0x3f62ad3f, v53, -v189
	v_mul_f32_e32 v162, 0x3f7e222b, v162
	v_fmac_f32_e32 v189, 0x3f62ad3f, v53
	v_fmac_f32_e32 v191, 0x3f116cb1, v46
	v_dual_add_f32 v41, v41, v55 :: v_dual_add_f32 v58, v127, v58
	s_delay_alu instid0(VALU_DEP_4) | instskip(SKIP_1) | instid1(VALU_DEP_3)
	v_fma_f32 v185, 0x3df6dbef, v52, -v162
	v_fma_f32 v127, 0x3f62ad3f, v51, -v201
	v_dual_fmac_f32 v160, 0xbf788fa5, v48 :: v_dual_add_f32 v41, v49, v41
	v_mul_u32_u24_e32 v49, 0x9c, v110
	s_delay_alu instid0(VALU_DEP_4) | instskip(NEXT) | instid1(VALU_DEP_4)
	v_add_f32_e32 v156, v185, v181
	v_add_f32_e32 v58, v127, v58
	v_fma_f32 v127, 0x3df6dbef, v54, -v204
	v_add_f32_e32 v63, v132, v129
	v_fma_f32 v48, 0x3f116cb1, v56, -v220
	v_add_f32_e32 v157, v157, v156
	v_fmac_f32_e32 v162, 0x3df6dbef, v52
	v_dual_add_f32 v58, v127, v58 :: v_dual_fmac_f32 v215, 0x3f62ad3f, v47
	v_add_f32_e32 v127, v40, v198
	v_add_f32_e32 v40, v40, v191
	v_fma_f32 v47, 0xbf788fa5, v51, -v168
	v_add_lshl_u32 v49, v49, v109, 3
	s_delay_alu instid0(VALU_DEP_4) | instskip(SKIP_2) | instid1(VALU_DEP_3)
	v_dual_add_f32 v65, v215, v65 :: v_dual_add_f32 v46, v218, v127
	v_add_f32_e32 v63, v64, v63
	v_fma_f32 v64, 0x3f116cb1, v54, -v209
	v_dual_add_f32 v40, v159, v40 :: v_dual_add_f32 v65, v216, v65
	v_fmac_f32_e32 v217, 0x3f116cb1, v50
	s_delay_alu instid0(VALU_DEP_3) | instskip(SKIP_4) | instid1(VALU_DEP_4)
	v_dual_add_f32 v46, v211, v46 :: v_dual_add_f32 v63, v64, v63
	v_fma_f32 v64, 0xbeb58ec6, v57, -v206
	v_add_f32_e32 v41, v47, v41
	v_fma_f32 v47, 0xbf3f9e67, v54, -v188
	v_fma_f32 v50, 0x3f62ad3f, v56, -v167
	v_dual_add_f32 v46, v221, v46 :: v_dual_add_f32 v63, v64, v63
	v_fma_f32 v64, 0x3df6dbef, v56, -v205
	v_fmac_f32_e32 v224, 0xbf788fa5, v52
	v_fmac_f32_e32 v219, 0xbeb58ec6, v52
	v_dual_add_f32 v40, v160, v40 :: v_dual_add_f32 v65, v217, v65
	v_add_f32_e32 v41, v47, v41
	v_fma_f32 v47, 0x3df6dbef, v57, -v165
	v_add_f32_e32 v64, v64, v63
	s_delay_alu instid0(VALU_DEP_4) | instskip(SKIP_3) | instid1(VALU_DEP_4)
	v_dual_add_f32 v46, v224, v46 :: v_dual_add_f32 v63, v219, v65
	v_add_f32_e32 v40, v161, v40
	v_fma_f32 v65, 0xbf788fa5, v57, -v202
	v_add_f32_e32 v47, v47, v41
	v_dual_fmac_f32 v208, 0x3f116cb1, v53 :: v_dual_add_f32 v63, v214, v63
	s_delay_alu instid0(VALU_DEP_3) | instskip(NEXT) | instid1(VALU_DEP_2)
	v_dual_add_f32 v51, v162, v40 :: v_dual_add_f32 v58, v65, v58
	v_dual_add_f32 v47, v50, v47 :: v_dual_add_f32 v40, v208, v46
	s_delay_alu instid0(VALU_DEP_2)
	v_dual_add_f32 v46, v189, v51 :: v_dual_add_f32 v41, v48, v58
	ds_store_2addr_b64 v49, v[59:60], v[61:62] offset1:12
	ds_store_2addr_b64 v49, v[157:158], v[163:164] offset0:24 offset1:36
	ds_store_2addr_b64 v49, v[173:174], v[171:172] offset0:48 offset1:60
	ds_store_2addr_b64 v49, v[169:170], v[63:64] offset0:72 offset1:84
	ds_store_2addr_b64 v49, v[44:45], v[40:41] offset0:96 offset1:108
	ds_store_2addr_b64 v49, v[42:43], v[46:47] offset0:120 offset1:132
	ds_store_b64 v49, v[105:106] offset:1152
.LBB0_5:
	s_wait_alu 0xfffe
	s_or_b32 exec_lo, exec_lo, s0
	v_add_co_u32 v44, s0, 0xffffffd9, v107
	s_wait_alu 0xf1ff
	v_add_co_ci_u32_e64 v45, null, 0, -1, s0
	v_lshrrev_b16 v46, 2, v66
	v_cmp_gt_u16_e64 s0, 39, v107
	global_wb scope:SCOPE_SE
	s_wait_dscnt 0x0
	s_barrier_signal -1
	s_barrier_wait -1
	global_inv scope:SCOPE_SE
	global_load_b128 v[40:43], v67, s[10:11] offset:1232
	s_wait_alu 0xf1ff
	v_cndmask_b32_e64 v65, v45, v70, s0
	v_and_b32_e32 v45, 0xffff, v46
	v_cndmask_b32_e64 v64, v44, v69, s0
	v_lshrrev_b16 v46, 2, v68
	v_add_nc_u32_e32 v132, 0xc00, v108
	v_add_nc_u32_e32 v184, 0x800, v108
	v_mul_u32_u24_e32 v47, 0xd21, v45
	v_lshlrev_b64_e32 v[44:45], 4, v[64:65]
	s_delay_alu instid0(VALU_DEP_2) | instskip(NEXT) | instid1(VALU_DEP_2)
	v_lshrrev_b32_e32 v65, 17, v47
	v_add_co_u32 v44, s0, s10, v44
	s_wait_alu 0xf1ff
	s_delay_alu instid0(VALU_DEP_3) | instskip(NEXT) | instid1(VALU_DEP_3)
	v_add_co_ci_u32_e64 v45, s0, s11, v45, s0
	v_mul_lo_u16 v47, 0x9c, v65
	global_load_b128 v[52:55], v[44:45], off offset:1232
	v_and_b32_e32 v46, 0xffff, v46
	v_sub_nc_u16 v69, v66, v47
	v_add_nc_u32_e32 v136, 0x1c00, v108
	s_delay_alu instid0(VALU_DEP_3) | instskip(NEXT) | instid1(VALU_DEP_3)
	v_mul_u32_u24_e32 v46, 0xd21, v46
	v_mad_u16 v65, 0x1d4, v65, v69
	s_delay_alu instid0(VALU_DEP_2) | instskip(NEXT) | instid1(VALU_DEP_2)
	v_lshrrev_b32_e32 v46, 17, v46
	v_and_b32_e32 v65, 0xffff, v65
	s_delay_alu instid0(VALU_DEP_2) | instskip(NEXT) | instid1(VALU_DEP_1)
	v_mul_lo_u16 v44, 0x9c, v46
	v_sub_nc_u16 v68, v68, v44
	v_lshlrev_b16 v44, 4, v69
	s_delay_alu instid0(VALU_DEP_2) | instskip(NEXT) | instid1(VALU_DEP_2)
	v_lshlrev_b16 v45, 4, v68
	v_and_b32_e32 v44, 0xffff, v44
	s_delay_alu instid0(VALU_DEP_2) | instskip(NEXT) | instid1(VALU_DEP_2)
	v_and_b32_e32 v46, 0xffff, v45
	v_add_co_u32 v44, s0, s10, v44
	s_wait_alu 0xf1ff
	v_add_co_ci_u32_e64 v45, null, s11, 0, s0
	s_delay_alu instid0(VALU_DEP_3)
	v_add_co_u32 v46, s0, s10, v46
	s_wait_alu 0xf1ff
	v_add_co_ci_u32_e64 v47, null, s11, 0, s0
	s_clause 0x1
	global_load_b128 v[48:51], v[44:45], off offset:1232
	global_load_b128 v[44:47], v[46:47], off offset:1232
	ds_load_2addr_b64 v[56:59], v132 offset0:84 offset1:201
	ds_load_2addr_b64 v[60:63], v136 offset0:40 offset1:157
	ds_load_2addr_b64 v[137:140], v108 offset1:117
	v_cmp_lt_u16_e64 s0, 38, v107
	v_add_nc_u32_e32 v133, 0x400, v108
	v_and_b32_e32 v127, 0xffff, v68
	v_add_nc_u32_e32 v134, 0x2400, v108
	s_wait_alu 0xf1ff
	v_cndmask_b32_e64 v128, 0, 0x1d4, s0
	s_add_nc_u64 s[0:1], s[8:9], 0x2be0
	s_delay_alu instid0(VALU_DEP_1)
	v_add_lshl_u32 v129, v64, v128, 3
	s_wait_loadcnt_dscnt 0x302
	v_mul_f32_e32 v64, v57, v41
	v_mul_f32_e32 v151, v56, v41
	s_wait_dscnt 0x1
	v_dual_mul_f32 v152, v60, v43 :: v_dual_add_nc_u32 v135, 0x1400, v108
	s_delay_alu instid0(VALU_DEP_3) | instskip(SKIP_2) | instid1(VALU_DEP_4)
	v_fma_f32 v64, v56, v40, -v64
	v_dual_mul_f32 v65, v61, v43 :: v_dual_lshlrev_b32 v128, 3, v65
	v_fmac_f32_e32 v151, v57, v40
	v_fmac_f32_e32 v152, v61, v42
	s_wait_dscnt 0x0
	v_add_f32_e32 v61, v137, v64
	v_fma_f32 v60, v60, v42, -v65
	v_lshlrev_b32_e32 v149, 3, v71
	v_sub_f32_e32 v65, v151, v152
	ds_load_2addr_b64 v[68:71], v133 offset0:106 offset1:223
	s_wait_loadcnt 0x2
	v_dual_add_f32 v56, v64, v60 :: v_dual_mul_f32 v153, v62, v55
	s_delay_alu instid0(VALU_DEP_1)
	v_fma_f32 v56, -0.5, v56, v137
	v_add_f32_e32 v57, v151, v152
	v_add_f32_e32 v151, v138, v151
	v_sub_f32_e32 v137, v64, v60
	v_add_f32_e32 v60, v61, v60
	v_fmamk_f32 v64, v65, 0x3f5db3d7, v56
	v_fma_f32 v57, -0.5, v57, v138
	v_dual_mul_f32 v138, v59, v53 :: v_dual_lshlrev_b32 v127, 3, v127
	v_dual_add_f32 v61, v151, v152 :: v_dual_mul_f32 v152, v58, v53
	s_delay_alu instid0(VALU_DEP_3) | instskip(NEXT) | instid1(VALU_DEP_3)
	v_dual_fmac_f32 v56, 0xbf5db3d7, v65 :: v_dual_fmamk_f32 v65, v137, 0xbf5db3d7, v57
	v_add_nc_u32_e32 v150, 0x1c00, v127
	v_mul_f32_e32 v151, v63, v55
	s_delay_alu instid0(VALU_DEP_4)
	v_fmac_f32_e32 v152, v59, v52
	v_fmac_f32_e32 v153, v63, v54
	ds_load_2addr_b64 v[141:144], v135 offset0:62 offset1:179
	ds_load_2addr_b64 v[145:148], v134 offset0:18 offset1:135
	v_fma_f32 v58, v58, v52, -v138
	v_fma_f32 v62, v62, v54, -v151
	global_wb scope:SCOPE_SE
	s_wait_loadcnt_dscnt 0x0
	v_add_f32_e32 v59, v152, v153
	v_fmac_f32_e32 v57, 0x3f5db3d7, v137
	s_barrier_signal -1
	s_barrier_wait -1
	global_inv scope:SCOPE_SE
	ds_store_2addr_b64 v108, v[60:61], v[64:65] offset1:156
	ds_store_b64 v108, v[56:57] offset:2496
	v_dual_add_f32 v56, v58, v62 :: v_dual_add_f32 v61, v140, v152
	v_dual_sub_f32 v63, v58, v62 :: v_dual_fmac_f32 v140, -0.5, v59
	s_delay_alu instid0(VALU_DEP_1) | instskip(SKIP_4) | instid1(VALU_DEP_4)
	v_fmamk_f32 v59, v63, 0xbf5db3d7, v140
	v_dual_fmac_f32 v140, 0x3f5db3d7, v63 :: v_dual_add_f32 v57, v139, v58
	v_sub_f32_e32 v60, v152, v153
	v_fma_f32 v139, -0.5, v56, v139
	v_mul_f32_e32 v64, v144, v45
	v_add_f32_e32 v56, v57, v62
	v_mul_f32_e32 v62, v146, v51
	s_delay_alu instid0(VALU_DEP_4)
	v_fmamk_f32 v58, v60, 0x3f5db3d7, v139
	v_dual_fmac_f32 v139, 0xbf5db3d7, v60 :: v_dual_mul_f32 v60, v142, v49
	v_add_f32_e32 v57, v61, v153
	v_dual_mul_f32 v61, v141, v49 :: v_dual_mul_f32 v138, v147, v47
	v_mul_f32_e32 v63, v145, v51
	ds_store_2addr_b64 v129, v[56:57], v[58:59] offset1:156
	v_fma_f32 v56, v141, v48, -v60
	v_fmac_f32_e32 v138, v148, v46
	v_fma_f32 v57, v145, v50, -v62
	v_fmac_f32_e32 v61, v142, v48
	v_fma_f32 v58, v143, v44, -v64
	v_add_f32_e32 v59, v68, v56
	v_mul_f32_e32 v137, v148, v47
	v_dual_fmac_f32 v63, v146, v50 :: v_dual_add_f32 v62, v56, v57
	v_sub_f32_e32 v141, v56, v57
	s_delay_alu instid0(VALU_DEP_4) | instskip(NEXT) | instid1(VALU_DEP_3)
	v_add_f32_e32 v56, v59, v57
	v_dual_mul_f32 v65, v143, v45 :: v_dual_sub_f32 v64, v61, v63
	v_add_f32_e32 v142, v70, v58
	v_fma_f32 v60, v147, v46, -v137
	s_delay_alu instid0(VALU_DEP_3) | instskip(NEXT) | instid1(VALU_DEP_2)
	v_fmac_f32_e32 v65, v144, v44
	v_add_f32_e32 v143, v58, v60
	v_sub_f32_e32 v146, v58, v60
	s_delay_alu instid0(VALU_DEP_3) | instskip(SKIP_3) | instid1(VALU_DEP_2)
	v_sub_f32_e32 v144, v65, v138
	v_add_f32_e32 v137, v69, v61
	v_fma_f32 v58, -0.5, v62, v68
	v_dual_add_f32 v61, v61, v63 :: v_dual_add_f32 v60, v142, v60
	v_dual_add_f32 v57, v137, v63 :: v_dual_fmamk_f32 v62, v64, 0x3f5db3d7, v58
	v_fma_f32 v70, -0.5, v143, v70
	v_add_f32_e32 v145, v71, v65
	v_add_f32_e32 v65, v65, v138
	v_fma_f32 v59, -0.5, v61, v69
	v_fmac_f32_e32 v58, 0xbf5db3d7, v64
	v_fmamk_f32 v64, v144, 0x3f5db3d7, v70
	s_delay_alu instid0(VALU_DEP_4) | instskip(NEXT) | instid1(VALU_DEP_4)
	v_dual_fmac_f32 v70, 0xbf5db3d7, v144 :: v_dual_fmac_f32 v71, -0.5, v65
	v_fmamk_f32 v63, v141, 0xbf5db3d7, v59
	v_fmac_f32_e32 v59, 0x3f5db3d7, v141
	v_add_f32_e32 v61, v145, v138
	s_delay_alu instid0(VALU_DEP_4)
	v_fmamk_f32 v65, v146, 0xbf5db3d7, v71
	v_fmac_f32_e32 v71, 0x3f5db3d7, v146
	ds_store_b64 v129, v[139:140] offset:2496
	ds_store_2addr_b64 v128, v[56:57], v[62:63] offset1:156
	ds_store_b64 v128, v[58:59] offset:2496
	ds_store_2addr_b64 v150, v[60:61], v[64:65] offset0:40 offset1:196
	ds_store_b64 v127, v[70:71] offset:9984
	v_lshlrev_b32_e32 v56, 4, v66
	global_wb scope:SCOPE_SE
	s_wait_dscnt 0x0
	s_barrier_signal -1
	s_barrier_wait -1
	global_inv scope:SCOPE_SE
	s_clause 0x3
	global_load_b128 v[68:71], v67, s[10:11] offset:3728
	global_load_b128 v[64:67], v149, s[10:11] offset:3728
	;; [unrolled: 1-line block ×4, first 2 shown]
	ds_load_2addr_b64 v[138:141], v132 offset0:84 offset1:201
	ds_load_2addr_b64 v[142:145], v136 offset0:40 offset1:157
	;; [unrolled: 1-line block ×4, first 2 shown]
	ds_load_2addr_b64 v[154:157], v108 offset1:117
	ds_load_2addr_b64 v[158:161], v133 offset0:106 offset1:223
	v_add_nc_u32_e32 v137, 0x1000, v108
	s_wait_loadcnt_dscnt 0x205
	v_mul_f32_e32 v167, v140, v65
	s_wait_loadcnt_dscnt 0x103
	v_mul_f32_e32 v170, v147, v61
	v_mul_f32_e32 v166, v141, v65
	;; [unrolled: 1-line block ×3, first 2 shown]
	v_dual_mul_f32 v164, v143, v71 :: v_dual_fmac_f32 v167, v141, v64
	s_delay_alu instid0(VALU_DEP_4)
	v_fma_f32 v141, v146, v60, -v170
	v_mul_f32_e32 v169, v144, v67
	v_mul_f32_e32 v168, v145, v67
	s_wait_loadcnt 0x0
	v_mul_f32_e32 v174, v149, v57
	v_fma_f32 v140, v140, v64, -v166
	v_mul_f32_e32 v163, v138, v69
	v_fmac_f32_e32 v169, v145, v66
	v_mul_f32_e32 v165, v142, v71
	s_wait_dscnt 0x2
	v_mul_f32_e32 v176, v153, v59
	v_fma_f32 v138, v138, v68, -v162
	v_mul_f32_e32 v172, v151, v63
	v_sub_f32_e32 v162, v167, v169
	v_fmac_f32_e32 v165, v143, v70
	v_fma_f32 v143, v148, v56, -v174
	v_fmac_f32_e32 v163, v139, v68
	v_fma_f32 v139, v142, v70, -v164
	v_fma_f32 v142, v144, v66, -v168
	v_mul_f32_e32 v171, v146, v61
	v_fma_f32 v144, v150, v62, -v172
	s_delay_alu instid0(VALU_DEP_4) | instskip(NEXT) | instid1(VALU_DEP_3)
	v_add_f32_e32 v146, v138, v139
	v_dual_sub_f32 v166, v140, v142 :: v_dual_fmac_f32 v171, v147, v60
	v_mul_f32_e32 v175, v148, v57
	v_fma_f32 v148, v152, v58, -v176
	s_wait_dscnt 0x0
	v_dual_add_f32 v176, v160, v143 :: v_dual_add_f32 v145, v154, v138
	v_add_f32_e32 v172, v159, v171
	v_sub_f32_e32 v174, v141, v144
	v_dual_add_f32 v178, v143, v148 :: v_dual_mul_f32 v173, v150, v63
	v_add_f32_e32 v164, v167, v169
	v_sub_f32_e32 v181, v143, v148
	v_add_f32_e32 v148, v176, v148
	s_delay_alu instid0(VALU_DEP_4) | instskip(SKIP_4) | instid1(VALU_DEP_3)
	v_dual_add_f32 v168, v141, v144 :: v_dual_fmac_f32 v173, v151, v62
	v_sub_f32_e32 v151, v163, v165
	v_fmac_f32_e32 v175, v149, v56
	v_add_f32_e32 v150, v156, v140
	v_fma_f32 v160, -0.5, v178, v160
	v_add_f32_e32 v180, v161, v175
	v_mul_f32_e32 v177, v152, v59
	v_sub_f32_e32 v152, v138, v139
	v_add_f32_e32 v138, v145, v139
	v_sub_f32_e32 v170, v171, v173
	v_add_f32_e32 v145, v172, v173
	v_fmac_f32_e32 v177, v153, v58
	v_add_f32_e32 v153, v140, v142
	v_fma_f32 v140, -0.5, v146, v154
	v_fma_f32 v146, -0.5, v168, v158
	v_dual_add_f32 v149, v163, v165 :: v_dual_add_f32 v142, v150, v142
	s_delay_alu instid0(VALU_DEP_3) | instskip(SKIP_1) | instid1(VALU_DEP_4)
	v_fmamk_f32 v150, v151, 0x3f5db3d7, v140
	v_fmac_f32_e32 v140, 0xbf5db3d7, v151
	v_fmamk_f32 v154, v170, 0x3f5db3d7, v146
	v_fma_f32 v156, -0.5, v153, v156
	v_add_f32_e32 v147, v155, v163
	v_dual_add_f32 v163, v157, v167 :: v_dual_fmac_f32 v146, 0xbf5db3d7, v170
	v_add_f32_e32 v167, v158, v141
	v_fma_f32 v141, -0.5, v149, v155
	v_fmac_f32_e32 v157, -0.5, v164
	s_delay_alu instid0(VALU_DEP_4) | instskip(NEXT) | instid1(VALU_DEP_4)
	v_add_f32_e32 v143, v163, v169
	v_add_f32_e32 v144, v167, v144
	v_sub_f32_e32 v179, v175, v177
	v_add_f32_e32 v171, v171, v173
	v_add_f32_e32 v175, v175, v177
	v_fmamk_f32 v151, v152, 0xbf5db3d7, v141
	v_dual_fmac_f32 v141, 0x3f5db3d7, v152 :: v_dual_fmamk_f32 v152, v162, 0x3f5db3d7, v156
	v_dual_fmac_f32 v156, 0xbf5db3d7, v162 :: v_dual_add_f32 v139, v147, v165
	v_fmamk_f32 v158, v179, 0x3f5db3d7, v160
	v_fmac_f32_e32 v160, 0xbf5db3d7, v179
	v_fma_f32 v147, -0.5, v171, v159
	v_fmac_f32_e32 v161, -0.5, v175
	v_fmamk_f32 v153, v166, 0xbf5db3d7, v157
	v_fmac_f32_e32 v157, 0x3f5db3d7, v166
	v_add_f32_e32 v149, v180, v177
	v_fmamk_f32 v155, v174, 0xbf5db3d7, v147
	v_fmac_f32_e32 v147, 0x3f5db3d7, v174
	v_fmamk_f32 v159, v181, 0xbf5db3d7, v161
	v_fmac_f32_e32 v161, 0x3f5db3d7, v181
	ds_store_b64 v108, v[150:151] offset:3744
	ds_store_b64 v108, v[140:141] offset:7488
	ds_store_2addr_b64 v108, v[138:139], v[142:143] offset1:117
	ds_store_b64 v108, v[156:157] offset:8424
	ds_store_2addr_b64 v137, v[152:153], v[154:155] offset0:73 offset1:190
	ds_store_2addr_b64 v133, v[144:145], v[148:149] offset0:106 offset1:223
	ds_store_b64 v108, v[158:159] offset:6552
	ds_store_2addr_b64 v134, v[146:147], v[160:161] offset0:18 offset1:135
	global_wb scope:SCOPE_SE
	s_wait_dscnt 0x0
	s_barrier_signal -1
	s_barrier_wait -1
	global_inv scope:SCOPE_SE
	global_load_b64 v[78:79], v[78:79], off offset:11232
	v_lshlrev_b32_e32 v138, 3, v107
	s_clause 0xa
	global_load_b64 v[162:163], v138, s[0:1] offset:936
	global_load_b64 v[164:165], v138, s[0:1] offset:5616
	;; [unrolled: 1-line block ×11, first 2 shown]
	ds_load_2addr_b64 v[138:141], v108 offset1:117
	s_wait_loadcnt_dscnt 0xb00
	v_mul_f32_e32 v142, v139, v79
	v_mul_f32_e32 v143, v138, v79
	s_wait_loadcnt 0xa
	v_mul_f32_e32 v79, v140, v163
	s_delay_alu instid0(VALU_DEP_3) | instskip(NEXT) | instid1(VALU_DEP_3)
	v_fma_f32 v142, v138, v78, -v142
	v_dual_fmac_f32 v143, v139, v78 :: v_dual_mul_f32 v78, v141, v163
	s_delay_alu instid0(VALU_DEP_3)
	v_fmac_f32_e32 v79, v141, v162
	v_add_nc_u32_e32 v139, 0x1800, v108
	v_add_nc_u32_e32 v138, 0x2000, v108
	ds_store_b64 v108, v[142:143]
	ds_load_2addr_b64 v[142:145], v135 offset0:62 offset1:179
	ds_load_2addr_b64 v[146:149], v133 offset0:106 offset1:223
	;; [unrolled: 1-line block ×5, first 2 shown]
	v_fma_f32 v78, v140, v162, -v78
	s_wait_loadcnt_dscnt 0x904
	v_mul_f32_e32 v140, v143, v165
	v_mul_f32_e32 v141, v142, v165
	s_wait_loadcnt_dscnt 0x703
	v_mul_f32_e32 v185, v147, v169
	v_dual_mul_f32 v165, v146, v169 :: v_dual_mul_f32 v162, v145, v167
	v_mul_f32_e32 v163, v144, v167
	s_wait_loadcnt_dscnt 0x602
	v_mul_f32_e32 v186, v151, v171
	v_mul_f32_e32 v167, v150, v171
	s_wait_loadcnt 0x5
	v_mul_f32_e32 v187, v149, v173
	v_mul_f32_e32 v169, v148, v173
	s_wait_loadcnt_dscnt 0x301
	v_mul_f32_e32 v189, v155, v177
	v_dual_mul_f32 v173, v154, v177 :: v_dual_mul_f32 v188, v153, v175
	v_mul_f32_e32 v171, v152, v175
	s_wait_loadcnt_dscnt 0x200
	v_mul_f32_e32 v190, v159, v179
	v_mul_f32_e32 v175, v158, v179
	s_wait_loadcnt 0x1
	v_mul_f32_e32 v191, v157, v181
	v_mul_f32_e32 v177, v156, v181
	s_wait_loadcnt 0x0
	v_mul_f32_e32 v181, v161, v183
	v_mul_f32_e32 v179, v160, v183
	v_fma_f32 v140, v142, v164, -v140
	v_fmac_f32_e32 v141, v143, v164
	v_fma_f32 v164, v146, v168, -v185
	v_fmac_f32_e32 v165, v147, v168
	;; [unrolled: 2-line block ×10, first 2 shown]
	ds_store_2addr_b64 v108, v[78:79], v[164:165] offset0:117 offset1:234
	ds_store_2addr_b64 v139, v[162:163], v[166:167] offset0:51 offset1:168
	;; [unrolled: 1-line block ×5, first 2 shown]
	ds_store_b64 v108, v[178:179] offset:10296
	global_wb scope:SCOPE_SE
	s_wait_dscnt 0x0
	s_barrier_signal -1
	s_barrier_wait -1
	global_inv scope:SCOPE_SE
	ds_load_2addr_b64 v[140:143], v108 offset1:117
	ds_load_2addr_b64 v[144:147], v135 offset0:62 offset1:179
	ds_load_2addr_b64 v[148:151], v133 offset0:106 offset1:223
	;; [unrolled: 1-line block ×5, first 2 shown]
	global_wb scope:SCOPE_SE
	s_wait_dscnt 0x0
	s_barrier_signal -1
	s_barrier_wait -1
	global_inv scope:SCOPE_SE
	v_dual_sub_f32 v164, v140, v144 :: v_dual_sub_f32 v165, v141, v145
	v_dual_sub_f32 v144, v142, v146 :: v_dual_sub_f32 v145, v143, v147
	;; [unrolled: 1-line block ×6, first 2 shown]
	v_fma_f32 v162, v140, 2.0, -v164
	v_fma_f32 v163, v141, 2.0, -v165
	;; [unrolled: 1-line block ×12, first 2 shown]
	ds_store_b128 v111, v[162:165]
	ds_store_b128 v115, v[142:145]
	;; [unrolled: 1-line block ×6, first 2 shown]
	global_wb scope:SCOPE_SE
	s_wait_dscnt 0x0
	s_barrier_signal -1
	s_barrier_wait -1
	global_inv scope:SCOPE_SE
	ds_load_2addr_b64 v[140:143], v135 offset0:62 offset1:179
	ds_load_2addr_b64 v[144:147], v136 offset0:40 offset1:157
	;; [unrolled: 1-line block ×3, first 2 shown]
	ds_load_2addr_b64 v[152:155], v108 offset1:117
	ds_load_2addr_b64 v[156:159], v133 offset0:106 offset1:223
	ds_load_2addr_b64 v[160:163], v132 offset0:84 offset1:201
	global_wb scope:SCOPE_SE
	s_wait_dscnt 0x0
	s_barrier_signal -1
	s_barrier_wait -1
	global_inv scope:SCOPE_SE
	v_mul_f32_e32 v78, v73, v141
	v_mul_f32_e32 v79, v73, v140
	;; [unrolled: 1-line block ×3, first 2 shown]
	v_dual_mul_f32 v75, v75, v142 :: v_dual_mul_f32 v114, v73, v145
	v_mul_f32_e32 v115, v73, v144
	v_mul_f32_e32 v116, v77, v147
	;; [unrolled: 1-line block ×6, first 2 shown]
	v_dual_mul_f32 v113, v113, v150 :: v_dual_fmac_f32 v78, v72, v140
	v_fma_f32 v79, v72, v141, -v79
	v_fmac_f32_e32 v111, v112, v142
	v_fma_f32 v75, v112, v143, -v75
	v_fmac_f32_e32 v114, v72, v144
	;; [unrolled: 2-line block ×5, first 2 shown]
	v_fma_f32 v141, v74, v151, -v113
	v_dual_sub_f32 v72, v152, v78 :: v_dual_sub_f32 v73, v153, v79
	v_sub_f32_e32 v74, v154, v111
	v_dual_sub_f32 v75, v155, v75 :: v_dual_sub_f32 v76, v156, v114
	v_sub_f32_e32 v77, v157, v112
	v_dual_sub_f32 v78, v158, v116 :: v_dual_sub_f32 v79, v159, v115
	v_dual_sub_f32 v111, v160, v130 :: v_dual_sub_f32 v112, v161, v140
	;; [unrolled: 1-line block ×3, first 2 shown]
	v_fma_f32 v115, v152, 2.0, -v72
	v_fma_f32 v116, v153, 2.0, -v73
	;; [unrolled: 1-line block ×12, first 2 shown]
	ds_store_2addr_b64 v122, v[115:116], v[72:73] offset1:2
	ds_store_2addr_b64 v125, v[130:131], v[74:75] offset1:2
	;; [unrolled: 1-line block ×6, first 2 shown]
	global_wb scope:SCOPE_SE
	s_wait_dscnt 0x0
	s_barrier_signal -1
	s_barrier_wait -1
	global_inv scope:SCOPE_SE
	ds_load_2addr_b64 v[111:114], v132 offset0:84 offset1:201
	ds_load_2addr_b64 v[140:143], v136 offset0:40 offset1:157
	;; [unrolled: 1-line block ×4, first 2 shown]
	ds_load_2addr_b64 v[72:75], v108 offset1:117
	ds_load_2addr_b64 v[76:79], v133 offset0:106 offset1:223
	global_wb scope:SCOPE_SE
	s_wait_dscnt 0x0
	s_barrier_signal -1
	s_barrier_wait -1
	global_inv scope:SCOPE_SE
	v_mul_f32_e32 v115, v1, v112
	v_dual_mul_f32 v1, v1, v111 :: v_dual_mul_f32 v116, v3, v141
	v_mul_f32_e32 v3, v3, v140
	v_mul_f32_e32 v117, v13, v114
	;; [unrolled: 1-line block ×6, first 2 shown]
	v_dual_mul_f32 v9, v9, v144 :: v_dual_mul_f32 v122, v11, v149
	v_mul_f32_e32 v11, v11, v148
	v_mul_f32_e32 v123, v5, v147
	;; [unrolled: 1-line block ×5, first 2 shown]
	v_fmac_f32_e32 v115, v0, v111
	v_fma_f32 v0, v0, v112, -v1
	v_fmac_f32_e32 v116, v2, v140
	v_fma_f32 v1, v2, v141, -v3
	;; [unrolled: 2-line block ×8, first 2 shown]
	v_add_f32_e32 v5, v72, v115
	v_add_f32_e32 v7, v115, v116
	v_add_f32_e32 v11, v0, v1
	v_add_f32_e32 v15, v117, v119
	v_dual_sub_f32 v113, v2, v3 :: v_dual_add_f32 v114, v75, v2
	v_add_f32_e32 v2, v2, v3
	v_add_f32_e32 v130, v121, v122
	v_dual_add_f32 v134, v77, v8 :: v_dual_add_f32 v135, v8, v9
	v_dual_add_f32 v140, v123, v125 :: v_dual_add_f32 v143, v4, v6
	v_dual_sub_f32 v111, v0, v1 :: v_dual_add_f32 v10, v73, v0
	v_sub_f32_e32 v112, v115, v116
	v_dual_add_f32 v14, v74, v117 :: v_dual_sub_f32 v115, v117, v119
	v_add_f32_e32 v117, v76, v121
	v_sub_f32_e32 v131, v8, v9
	v_dual_sub_f32 v121, v121, v122 :: v_dual_add_f32 v136, v78, v123
	v_dual_sub_f32 v141, v4, v6 :: v_dual_add_f32 v142, v79, v4
	;; [unrolled: 1-line block ×3, first 2 shown]
	v_fma_f32 v12, -0.5, v7, v72
	v_fma_f32 v13, -0.5, v11, v73
	;; [unrolled: 1-line block ×3, first 2 shown]
	v_fmac_f32_e32 v75, -0.5, v2
	v_fma_f32 v8, -0.5, v130, v76
	v_add_f32_e32 v5, v134, v9
	v_fma_f32 v9, -0.5, v135, v77
	v_fma_f32 v78, -0.5, v140, v78
	v_fmac_f32_e32 v79, -0.5, v143
	v_add_f32_e32 v1, v10, v1
	v_add_f32_e32 v14, v14, v119
	v_dual_add_f32 v15, v114, v3 :: v_dual_add_f32 v4, v117, v122
	v_dual_add_f32 v10, v136, v125 :: v_dual_add_f32 v11, v142, v6
	v_fmamk_f32 v2, v111, 0xbf5db3d7, v12
	v_dual_fmac_f32 v12, 0x3f5db3d7, v111 :: v_dual_fmamk_f32 v3, v112, 0x3f5db3d7, v13
	v_dual_fmac_f32 v13, 0xbf5db3d7, v112 :: v_dual_fmamk_f32 v72, v113, 0xbf5db3d7, v74
	;; [unrolled: 1-line block ×7, first 2 shown]
	v_fmac_f32_e32 v79, 0xbf5db3d7, v123
	ds_store_2addr_b64 v126, v[0:1], v[2:3] offset1:4
	ds_store_b64 v126, v[12:13] offset:64
	ds_store_2addr_b64 v124, v[14:15], v[72:73] offset1:4
	ds_store_b64 v124, v[74:75] offset:64
	;; [unrolled: 2-line block ×4, first 2 shown]
	global_wb scope:SCOPE_SE
	s_wait_dscnt 0x0
	s_barrier_signal -1
	s_barrier_wait -1
	global_inv scope:SCOPE_SE
	s_and_saveexec_b32 s0, vcc_lo
	s_cbranch_execz .LBB0_7
; %bb.6:
	ds_load_2addr_b64 v[0:3], v108 offset1:108
	ds_load_2addr_b64 v[12:15], v133 offset0:88 offset1:196
	ds_load_2addr_b64 v[72:75], v132 offset0:48 offset1:156
	;; [unrolled: 1-line block ×5, first 2 shown]
	ds_load_b64 v[105:106], v108 offset:10368
.LBB0_7:
	s_wait_alu 0xfffe
	s_or_b32 exec_lo, exec_lo, s0
	global_wb scope:SCOPE_SE
	s_wait_dscnt 0x0
	s_barrier_signal -1
	s_barrier_wait -1
	global_inv scope:SCOPE_SE
	s_and_saveexec_b32 s0, vcc_lo
	s_cbranch_execz .LBB0_9
; %bb.8:
	v_dual_mul_f32 v112, v29, v3 :: v_dual_mul_f32 v111, v39, v106
	v_dual_mul_f32 v113, v39, v105 :: v_dual_mul_f32 v114, v29, v2
	s_delay_alu instid0(VALU_DEP_2) | instskip(NEXT) | instid1(VALU_DEP_3)
	v_dual_mul_f32 v115, v17, v75 :: v_dual_fmac_f32 v112, v28, v2
	v_fmac_f32_e32 v111, v38, v105
	v_mul_f32_e32 v39, v31, v13
	s_delay_alu instid0(VALU_DEP_4) | instskip(SKIP_4) | instid1(VALU_DEP_3)
	v_fma_f32 v38, v38, v106, -v113
	v_fma_f32 v105, v28, v3, -v114
	v_mul_f32_e32 v29, v37, v79
	v_sub_f32_e32 v28, v112, v111
	v_dual_mul_f32 v2, v37, v78 :: v_dual_fmac_f32 v39, v30, v12
	v_dual_add_f32 v106, v38, v105 :: v_dual_fmac_f32 v29, v36, v78
	v_sub_f32_e32 v119, v105, v38
	s_delay_alu instid0(VALU_DEP_3)
	v_fma_f32 v36, v36, v79, -v2
	v_mul_f32_e32 v2, v35, v76
	v_mul_f32_e32 v113, 0xbf7e222b, v28
	;; [unrolled: 1-line block ×3, first 2 shown]
	v_dual_sub_f32 v12, v39, v29 :: v_dual_mul_f32 v37, v25, v15
	v_mul_f32_e32 v141, 0xbf788fa5, v106
	s_delay_alu instid0(VALU_DEP_4) | instskip(NEXT) | instid1(VALU_DEP_4)
	v_dual_fmamk_f32 v114, v106, 0x3df6dbef, v113 :: v_dual_mul_f32 v31, v35, v77
	v_fma_f32 v78, v30, v13, -v3
	v_mul_f32_e32 v3, v25, v14
	v_fma_f32 v25, v34, v77, -v2
	s_delay_alu instid0(VALU_DEP_4) | instskip(NEXT) | instid1(VALU_DEP_4)
	v_dual_add_f32 v2, v1, v114 :: v_dual_fmac_f32 v31, v34, v76
	v_dual_mul_f32 v76, 0xbe750f2a, v12 :: v_dual_add_f32 v79, v36, v78
	v_mul_f32_e32 v34, v27, v73
	v_fma_f32 v35, v24, v15, -v3
	v_dual_fmac_f32 v37, v24, v14 :: v_dual_mul_f32 v24, v33, v11
	v_dual_fmac_f32 v115, v16, v74 :: v_dual_mul_f32 v116, v19, v5
	s_delay_alu instid0(VALU_DEP_4) | instskip(NEXT) | instid1(VALU_DEP_4)
	v_fmac_f32_e32 v34, v26, v72
	v_add_f32_e32 v114, v25, v35
	s_delay_alu instid0(VALU_DEP_4) | instskip(SKIP_4) | instid1(VALU_DEP_4)
	v_fmac_f32_e32 v24, v32, v10
	v_fmamk_f32 v3, v79, 0xbf788fa5, v76
	v_dual_mul_f32 v14, v27, v72 :: v_dual_mul_f32 v117, v21, v7
	v_sub_f32_e32 v120, v78, v36
	v_sub_f32_e32 v122, v35, v25
	v_dual_add_f32 v2, v3, v2 :: v_dual_sub_f32 v13, v37, v31
	s_delay_alu instid0(VALU_DEP_4)
	v_fma_f32 v26, v26, v73, -v14
	v_mul_f32_e32 v27, v23, v9
	v_fmac_f32_e32 v117, v20, v6
	v_mul_f32_e32 v121, 0xbe750f2a, v120
	v_mul_f32_e32 v77, 0x3f6f5d39, v13
	v_fmamk_f32 v143, v28, 0x3e750f2a, v141
	v_fmac_f32_e32 v27, v22, v8
	v_mul_f32_e32 v138, 0x3f7e222b, v120
	v_mul_f32_e32 v147, 0xbf3f9e67, v114
	v_fmamk_f32 v3, v114, 0xbeb58ec6, v77
	v_fma_f32 v76, 0xbf788fa5, v79, -v76
	v_fmac_f32_e32 v116, v18, v4
	v_mul_f32_e32 v4, v19, v4
	v_add_f32_e32 v14, v29, v39
	v_add_f32_e32 v2, v3, v2
	v_dual_mul_f32 v3, v33, v10 :: v_dual_sub_f32 v10, v34, v24
	s_delay_alu instid0(VALU_DEP_4) | instskip(SKIP_2) | instid1(VALU_DEP_4)
	v_fma_f32 v126, v18, v5, -v4
	v_mul_f32_e32 v139, 0xbf52af12, v122
	v_mul_f32_e32 v6, v21, v6
	v_fma_f32 v30, v32, v11, -v3
	v_mul_f32_e32 v11, v17, v74
	v_mul_f32_e32 v21, 0xbf52af12, v13
	;; [unrolled: 1-line block ×3, first 2 shown]
	v_fma_f32 v124, v20, v7, -v6
	v_add_f32_e32 v72, v30, v26
	v_fma_f32 v75, v16, v75, -v11
	v_mul_f32_e32 v3, v23, v8
	v_mul_f32_e32 v23, 0x3eedf032, v10
	v_add_f32_e32 v11, v111, v112
	v_dual_add_f32 v131, v124, v126 :: v_dual_mul_f32 v6, 0xbf29c268, v28
	s_delay_alu instid0(VALU_DEP_4) | instskip(NEXT) | instid1(VALU_DEP_4)
	v_fma_f32 v74, v22, v9, -v3
	v_fmamk_f32 v3, v72, 0x3f62ad3f, v23
	v_mul_f32_e32 v33, 0xbf7e222b, v119
	v_fma_f32 v16, 0xbf788fa5, v14, -v121
	v_fmamk_f32 v5, v106, 0xbf3f9e67, v6
	v_add_f32_e32 v118, v74, v75
	v_add_f32_e32 v2, v3, v2
	v_sub_f32_e32 v8, v115, v27
	v_dual_sub_f32 v132, v75, v74 :: v_dual_mul_f32 v7, 0x3f7e222b, v12
	v_add_f32_e32 v5, v1, v5
	v_dual_add_f32 v15, v31, v37 :: v_dual_sub_f32 v134, v126, v124
	s_delay_alu instid0(VALU_DEP_4) | instskip(NEXT) | instid1(VALU_DEP_4)
	v_mul_f32_e32 v32, 0xbf52af12, v8
	v_mul_f32_e32 v133, 0xbf52af12, v132
	v_fmamk_f32 v20, v79, 0x3df6dbef, v7
	v_add_f32_e32 v17, v27, v115
	v_mul_f32_e32 v145, 0x3eedf032, v132
	v_fmamk_f32 v3, v118, 0x3f116cb1, v32
	v_dual_sub_f32 v9, v116, v117 :: v_dual_mul_f32 v22, 0x3eedf032, v8
	s_delay_alu instid0(VALU_DEP_4) | instskip(SKIP_1) | instid1(VALU_DEP_3)
	v_fma_f32 v19, 0x3f116cb1, v17, -v133
	v_mul_f32_e32 v123, 0x3f6f5d39, v122
	v_dual_add_f32 v2, v3, v2 :: v_dual_mul_f32 v73, 0xbf29c268, v9
	v_fma_f32 v3, 0x3df6dbef, v11, -v33
	v_sub_f32_e32 v125, v26, v30
	s_delay_alu instid0(VALU_DEP_4) | instskip(SKIP_1) | instid1(VALU_DEP_4)
	v_fma_f32 v4, 0xbeb58ec6, v15, -v123
	v_dual_add_f32 v143, v1, v143 :: v_dual_fmamk_f32 v146, v12, 0xbeedf032, v144
	v_dual_fmamk_f32 v18, v131, 0xbf3f9e67, v73 :: v_dual_add_f32 v3, v0, v3
	s_delay_alu instid0(VALU_DEP_4)
	v_mul_f32_e32 v130, 0x3eedf032, v125
	v_mul_f32_e32 v135, 0xbf29c268, v134
	v_fma_f32 v6, 0xbf3f9e67, v106, -v6
	v_fma_f32 v23, 0x3f62ad3f, v72, -v23
	v_add_f32_e32 v3, v16, v3
	v_dual_add_f32 v16, v24, v34 :: v_dual_fmac_f32 v33, 0x3df6dbef, v11
	v_fma_f32 v32, 0x3f116cb1, v118, -v32
	v_mul_f32_e32 v161, 0x3e750f2a, v132
	s_delay_alu instid0(VALU_DEP_4) | instskip(NEXT) | instid1(VALU_DEP_4)
	v_add_f32_e32 v3, v4, v3
	v_fma_f32 v4, 0x3f62ad3f, v16, -v130
	v_add_f32_e32 v105, v105, v1
	v_mul_f32_e32 v165, 0x3f7e222b, v132
	v_dual_mul_f32 v167, 0x3eedf032, v134 :: v_dual_fmac_f32 v144, 0x3eedf032, v12
	s_delay_alu instid0(VALU_DEP_4) | instskip(SKIP_3) | instid1(VALU_DEP_4)
	v_dual_add_f32 v4, v4, v3 :: v_dual_add_f32 v3, v18, v2
	v_add_f32_e32 v18, v117, v116
	v_mul_f32_e32 v158, 0x3f116cb1, v131
	v_fma_f32 v73, 0xbf3f9e67, v131, -v73
	v_add_f32_e32 v2, v19, v4
	v_dual_add_f32 v4, v20, v5 :: v_dual_mul_f32 v19, 0x3e750f2a, v10
	v_fma_f32 v148, 0x3f62ad3f, v17, -v145
	v_fmamk_f32 v5, v114, 0x3f116cb1, v21
	v_mul_f32_e32 v20, 0xbf29c268, v119
	v_fmac_f32_e32 v123, 0xbeb58ec6, v15
	v_fma_f32 v136, 0xbf3f9e67, v18, -v135
	s_delay_alu instid0(VALU_DEP_4) | instskip(SKIP_2) | instid1(VALU_DEP_4)
	v_dual_mul_f32 v149, 0xbeb58ec6, v118 :: v_dual_add_f32 v4, v5, v4
	v_fmamk_f32 v5, v72, 0xbf788fa5, v19
	v_fma_f32 v137, 0xbf3f9e67, v11, -v20
	v_dual_add_f32 v2, v136, v2 :: v_dual_fmac_f32 v133, 0x3f116cb1, v17
	s_delay_alu instid0(VALU_DEP_3) | instskip(NEXT) | instid1(VALU_DEP_3)
	v_dual_fmamk_f32 v153, v8, 0x3f6f5d39, v149 :: v_dual_add_f32 v4, v5, v4
	v_dual_fmamk_f32 v5, v118, 0x3f62ad3f, v22 :: v_dual_add_f32 v136, v0, v137
	v_fma_f32 v137, 0x3df6dbef, v14, -v138
	v_mul_f32_e32 v140, 0xbf6f5d39, v9
	v_fma_f32 v21, 0x3f116cb1, v114, -v21
	s_delay_alu instid0(VALU_DEP_4)
	v_add_f32_e32 v4, v5, v4
	v_fma_f32 v19, 0xbf788fa5, v72, -v19
	v_add_f32_e32 v5, v137, v136
	v_fma_f32 v136, 0x3f116cb1, v15, -v139
	v_mul_f32_e32 v137, 0x3e750f2a, v125
	v_fmamk_f32 v142, v131, 0xbeb58ec6, v140
	v_fma_f32 v22, 0x3f62ad3f, v118, -v22
	v_fmac_f32_e32 v149, 0xbf6f5d39, v8
	v_add_f32_e32 v5, v136, v5
	v_fma_f32 v136, 0xbf788fa5, v16, -v137
	v_fmac_f32_e32 v138, 0x3df6dbef, v14
	v_dual_add_f32 v6, v1, v6 :: v_dual_mul_f32 v157, 0xbf6f5d39, v132
	v_add_f32_e32 v33, v0, v33
	s_delay_alu instid0(VALU_DEP_4) | instskip(SKIP_3) | instid1(VALU_DEP_4)
	v_dual_add_f32 v136, v136, v5 :: v_dual_add_f32 v5, v142, v4
	v_fmamk_f32 v142, v13, 0x3f29c268, v147
	v_dual_add_f32 v4, v146, v143 :: v_dual_mul_f32 v143, 0x3f116cb1, v72
	v_fma_f32 v156, 0x3df6dbef, v79, -v7
	v_add_f32_e32 v136, v148, v136
	v_mul_f32_e32 v146, 0xbf6f5d39, v134
	s_delay_alu instid0(VALU_DEP_4) | instskip(SKIP_4) | instid1(VALU_DEP_4)
	v_add_f32_e32 v4, v142, v4
	v_fmamk_f32 v142, v10, 0xbf52af12, v143
	v_add_f32_e32 v6, v156, v6
	v_mul_f32_e32 v156, 0x3eedf032, v122
	v_fma_f32 v150, 0xbeb58ec6, v18, -v146
	v_dual_fmac_f32 v135, 0xbf3f9e67, v18 :: v_dual_add_f32 v142, v142, v4
	v_fmac_f32_e32 v121, 0xbf788fa5, v14
	v_fmac_f32_e32 v146, 0xbeb58ec6, v18
	s_delay_alu instid0(VALU_DEP_4) | instskip(NEXT) | instid1(VALU_DEP_4)
	v_add_f32_e32 v4, v150, v136
	v_dual_fmac_f32 v141, 0xbe750f2a, v28 :: v_dual_add_f32 v142, v153, v142
	v_dual_mul_f32 v153, 0x3df6dbef, v131 :: v_dual_add_f32 v6, v21, v6
	v_dual_mul_f32 v152, 0x3eedf032, v120 :: v_dual_add_f32 v33, v121, v33
	v_fmac_f32_e32 v130, 0x3f62ad3f, v16
	s_delay_alu instid0(VALU_DEP_3) | instskip(NEXT) | instid1(VALU_DEP_4)
	v_fmamk_f32 v155, v9, 0xbf7e222b, v153
	v_dual_mul_f32 v148, 0xbe750f2a, v119 :: v_dual_add_f32 v19, v19, v6
	s_delay_alu instid0(VALU_DEP_4) | instskip(NEXT) | instid1(VALU_DEP_3)
	v_fmamk_f32 v150, v14, 0x3f62ad3f, v152
	v_dual_mul_f32 v154, 0x3f52af12, v125 :: v_dual_add_f32 v7, v155, v142
	s_delay_alu instid0(VALU_DEP_3) | instskip(NEXT) | instid1(VALU_DEP_4)
	v_fmamk_f32 v151, v11, 0xbf788fa5, v148
	v_dual_fmamk_f32 v142, v17, 0xbeb58ec6, v157 :: v_dual_add_f32 v19, v22, v19
	v_fmamk_f32 v159, v9, 0xbf52af12, v158
	s_delay_alu instid0(VALU_DEP_3) | instskip(SKIP_3) | instid1(VALU_DEP_4)
	v_dual_mul_f32 v155, 0x3f29c268, v120 :: v_dual_add_f32 v136, v0, v151
	v_fmac_f32_e32 v145, 0x3f62ad3f, v17
	v_fmac_f32_e32 v20, 0xbf3f9e67, v11
	v_mul_f32_e32 v151, 0xbf29c268, v122
	v_dual_mul_f32 v121, 0xbf788fa5, v114 :: v_dual_add_f32 v136, v150, v136
	s_delay_alu instid0(VALU_DEP_3) | instskip(NEXT) | instid1(VALU_DEP_3)
	v_dual_fmac_f32 v139, 0x3f116cb1, v15 :: v_dual_add_f32 v20, v0, v20
	v_fmamk_f32 v150, v15, 0xbf3f9e67, v151
	v_fmac_f32_e32 v153, 0x3f7e222b, v9
	v_fmac_f32_e32 v147, 0xbf29c268, v13
	v_add_f32_e32 v78, v78, v105
	v_add_f32_e32 v20, v138, v20
	;; [unrolled: 1-line block ×3, first 2 shown]
	v_fmamk_f32 v150, v16, 0x3f116cb1, v154
	v_dual_mul_f32 v138, 0x3f62ad3f, v114 :: v_dual_add_f32 v105, v0, v112
	s_delay_alu instid0(VALU_DEP_4)
	v_add_f32_e32 v20, v139, v20
	v_fma_f32 v139, 0xbeb58ec6, v131, -v140
	v_fmac_f32_e32 v137, 0xbf788fa5, v16
	v_add_f32_e32 v136, v150, v136
	v_mul_f32_e32 v150, 0x3f7e222b, v134
	v_dual_mul_f32 v140, 0x3df6dbef, v72 :: v_dual_add_f32 v35, v35, v78
	s_delay_alu instid0(VALU_DEP_4) | instskip(NEXT) | instid1(VALU_DEP_4)
	v_dual_add_f32 v137, v137, v20 :: v_dual_add_f32 v20, v139, v19
	v_add_f32_e32 v21, v142, v136
	s_delay_alu instid0(VALU_DEP_3) | instskip(NEXT) | instid1(VALU_DEP_3)
	v_dual_mul_f32 v139, 0xbf788fa5, v118 :: v_dual_add_f32 v26, v26, v35
	v_add_f32_e32 v19, v145, v137
	v_mul_f32_e32 v137, 0xbf6f5d39, v119
	v_mul_f32_e32 v142, 0xbeb58ec6, v106
	;; [unrolled: 1-line block ×3, first 2 shown]
	s_delay_alu instid0(VALU_DEP_4) | instskip(NEXT) | instid1(VALU_DEP_4)
	v_dual_add_f32 v26, v75, v26 :: v_dual_add_f32 v19, v146, v19
	v_fmamk_f32 v145, v11, 0xbeb58ec6, v137
	v_fmamk_f32 v136, v18, 0x3df6dbef, v150
	v_fmamk_f32 v146, v14, 0xbf3f9e67, v155
	s_delay_alu instid0(VALU_DEP_4)
	v_add_f32_e32 v26, v126, v26
	v_mul_f32_e32 v162, 0x3f29c268, v125
	v_add_f32_e32 v145, v0, v145
	v_add_f32_e32 v6, v136, v21
	v_fmamk_f32 v21, v28, 0x3f6f5d39, v142
	v_mul_f32_e32 v136, 0xbf3f9e67, v79
	s_delay_alu instid0(VALU_DEP_2) | instskip(NEXT) | instid1(VALU_DEP_2)
	v_dual_fmac_f32 v142, 0xbf6f5d39, v28 :: v_dual_add_f32 v21, v1, v21
	v_fmamk_f32 v22, v12, 0xbf29c268, v136
	s_delay_alu instid0(VALU_DEP_1) | instskip(NEXT) | instid1(VALU_DEP_1)
	v_dual_add_f32 v21, v22, v21 :: v_dual_fmamk_f32 v22, v13, 0xbeedf032, v138
	v_add_f32_e32 v21, v22, v21
	v_fmamk_f32 v22, v10, 0x3f7e222b, v140
	s_delay_alu instid0(VALU_DEP_1) | instskip(SKIP_3) | instid1(VALU_DEP_4)
	v_dual_add_f32 v21, v22, v21 :: v_dual_fmamk_f32 v22, v8, 0xbe750f2a, v139
	v_fmac_f32_e32 v136, 0x3f29c268, v12
	v_mul_f32_e32 v75, 0xbf6f5d39, v125
	v_fmac_f32_e32 v139, 0x3e750f2a, v8
	v_add_f32_e32 v21, v22, v21
	v_fma_f32 v22, 0x3df6dbef, v106, -v113
	v_fmac_f32_e32 v138, 0x3eedf032, v13
	s_delay_alu instid0(VALU_DEP_2) | instskip(NEXT) | instid1(VALU_DEP_4)
	v_add_f32_e32 v160, v1, v22
	v_dual_add_f32 v22, v159, v21 :: v_dual_mul_f32 v159, 0xbf6f5d39, v120
	v_mul_f32_e32 v120, 0xbf52af12, v120
	s_delay_alu instid0(VALU_DEP_3) | instskip(SKIP_1) | instid1(VALU_DEP_1)
	v_add_f32_e32 v21, v76, v160
	v_fma_f32 v76, 0xbeb58ec6, v114, -v77
	v_dual_mul_f32 v114, 0x3df6dbef, v114 :: v_dual_add_f32 v21, v76, v21
	v_add_f32_e32 v113, v146, v145
	v_fmamk_f32 v145, v15, 0x3f62ad3f, v156
	v_mul_f32_e32 v146, 0xbf7e222b, v125
	s_delay_alu instid0(VALU_DEP_4) | instskip(NEXT) | instid1(VALU_DEP_3)
	v_add_f32_e32 v23, v23, v21
	v_dual_add_f32 v113, v145, v113 :: v_dual_fmac_f32 v140, 0xbf7e222b, v10
	s_delay_alu instid0(VALU_DEP_2) | instskip(NEXT) | instid1(VALU_DEP_4)
	v_dual_add_f32 v23, v32, v23 :: v_dual_add_f32 v32, v123, v33
	v_fmamk_f32 v145, v16, 0x3df6dbef, v146
	s_delay_alu instid0(VALU_DEP_2) | instskip(NEXT) | instid1(VALU_DEP_2)
	v_dual_fmamk_f32 v123, v13, 0x3e750f2a, v121 :: v_dual_add_f32 v32, v130, v32
	v_add_f32_e32 v77, v145, v113
	v_fmamk_f32 v113, v17, 0xbf788fa5, v161
	v_mul_f32_e32 v130, 0xbf3f9e67, v72
	v_fmamk_f32 v72, v18, 0x3f62ad3f, v167
	s_delay_alu instid0(VALU_DEP_3) | instskip(SKIP_1) | instid1(VALU_DEP_1)
	v_dual_add_f32 v76, v113, v77 :: v_dual_mul_f32 v113, 0x3f116cb1, v106
	v_mul_f32_e32 v106, 0x3f62ad3f, v106
	v_fmamk_f32 v164, v28, 0x3eedf032, v106
	s_delay_alu instid0(VALU_DEP_1) | instskip(NEXT) | instid1(VALU_DEP_1)
	v_dual_add_f32 v164, v1, v164 :: v_dual_mul_f32 v145, 0x3f52af12, v134
	v_fmamk_f32 v77, v18, 0x3f116cb1, v145
	v_dual_fmac_f32 v143, 0x3f52af12, v10 :: v_dual_fmac_f32 v158, 0x3f52af12, v9
	s_delay_alu instid0(VALU_DEP_2) | instskip(SKIP_3) | instid1(VALU_DEP_3)
	v_dual_add_f32 v21, v77, v76 :: v_dual_fmamk_f32 v76, v28, 0x3f52af12, v113
	v_mul_f32_e32 v77, 0xbeb58ec6, v79
	v_mul_f32_e32 v79, 0x3f116cb1, v79
	v_fmac_f32_e32 v113, 0xbf52af12, v28
	v_dual_add_f32 v33, v1, v76 :: v_dual_fmamk_f32 v76, v12, 0x3f6f5d39, v77
	s_delay_alu instid0(VALU_DEP_1)
	v_dual_fmac_f32 v77, 0xbf6f5d39, v12 :: v_dual_add_f32 v76, v76, v33
	v_add_f32_e32 v33, v73, v23
	v_add_f32_e32 v23, v133, v32
	v_mul_f32_e32 v133, 0xbf52af12, v119
	v_mul_f32_e32 v119, 0xbeedf032, v119
	v_dual_fmamk_f32 v73, v10, 0xbf29c268, v130 :: v_dual_add_f32 v32, v123, v76
	v_mul_f32_e32 v76, 0x3df6dbef, v118
	v_mul_f32_e32 v118, 0xbf3f9e67, v118
	s_delay_alu instid0(VALU_DEP_4) | instskip(NEXT) | instid1(VALU_DEP_4)
	v_fmamk_f32 v112, v11, 0x3f62ad3f, v119
	v_dual_fmac_f32 v130, 0x3f29c268, v10 :: v_dual_add_f32 v73, v73, v32
	s_delay_alu instid0(VALU_DEP_4) | instskip(SKIP_1) | instid1(VALU_DEP_4)
	v_fmamk_f32 v160, v8, 0xbf7e222b, v76
	v_fmac_f32_e32 v76, 0x3f7e222b, v8
	v_add_f32_e32 v78, v0, v112
	v_dual_mul_f32 v112, 0xbf7e222b, v122 :: v_dual_add_f32 v39, v39, v105
	v_fmamk_f32 v105, v14, 0x3f116cb1, v120
	v_dual_add_f32 v73, v160, v73 :: v_dual_mul_f32 v160, 0x3f62ad3f, v131
	v_add_f32_e32 v32, v135, v23
	s_delay_alu instid0(VALU_DEP_4) | instskip(NEXT) | instid1(VALU_DEP_4)
	v_add_f32_e32 v35, v37, v39
	v_dual_add_f32 v39, v105, v78 :: v_dual_fmamk_f32 v78, v15, 0x3df6dbef, v112
	v_fmamk_f32 v123, v11, 0x3f116cb1, v133
	s_delay_alu instid0(VALU_DEP_3) | instskip(SKIP_1) | instid1(VALU_DEP_4)
	v_dual_fmamk_f32 v163, v9, 0xbeedf032, v160 :: v_dual_add_f32 v34, v34, v35
	v_mul_f32_e32 v37, 0xbf788fa5, v131
	v_add_f32_e32 v39, v78, v39
	s_delay_alu instid0(VALU_DEP_4) | instskip(NEXT) | instid1(VALU_DEP_4)
	v_add_f32_e32 v23, v0, v123
	v_dual_fmamk_f32 v123, v14, 0xbeb58ec6, v159 :: v_dual_add_f32 v34, v115, v34
	v_fmamk_f32 v78, v16, 0xbeb58ec6, v75
	v_mul_f32_e32 v135, 0xbe750f2a, v122
	v_fmamk_f32 v35, v9, 0x3e750f2a, v37
	s_delay_alu instid0(VALU_DEP_4) | instskip(SKIP_1) | instid1(VALU_DEP_4)
	v_dual_add_f32 v23, v123, v23 :: v_dual_fmac_f32 v106, 0xbeedf032, v28
	v_fmac_f32_e32 v160, 0x3eedf032, v9
	v_fmamk_f32 v123, v15, 0xbf788fa5, v135
	s_delay_alu instid0(VALU_DEP_1) | instskip(SKIP_1) | instid1(VALU_DEP_1)
	v_add_f32_e32 v23, v123, v23
	v_fmamk_f32 v123, v16, 0xbf3f9e67, v162
	v_dual_fmamk_f32 v166, v12, 0x3f52af12, v79 :: v_dual_add_f32 v23, v123, v23
	s_delay_alu instid0(VALU_DEP_1) | instskip(SKIP_2) | instid1(VALU_DEP_3)
	v_dual_fmamk_f32 v123, v17, 0x3df6dbef, v165 :: v_dual_add_f32 v164, v166, v164
	v_dual_fmamk_f32 v166, v13, 0x3f7e222b, v114 :: v_dual_add_f32 v73, v163, v73
	v_fmamk_f32 v163, v10, 0x3f6f5d39, v168
	v_dual_add_f32 v23, v123, v23 :: v_dual_fmac_f32 v168, 0xbf6f5d39, v10
	s_delay_alu instid0(VALU_DEP_3) | instskip(NEXT) | instid1(VALU_DEP_2)
	v_dual_add_f32 v123, v166, v164 :: v_dual_fmac_f32 v114, 0xbf7e222b, v13
	v_dual_add_f32 v72, v72, v23 :: v_dual_fmac_f32 v121, 0xbe750f2a, v13
	s_delay_alu instid0(VALU_DEP_2) | instskip(SKIP_1) | instid1(VALU_DEP_1)
	v_add_f32_e32 v23, v163, v123
	v_fmamk_f32 v123, v8, 0x3f29c268, v118
	v_dual_fmac_f32 v118, 0xbf29c268, v8 :: v_dual_add_f32 v23, v123, v23
	s_delay_alu instid0(VALU_DEP_1) | instskip(SKIP_3) | instid1(VALU_DEP_3)
	v_add_f32_e32 v35, v35, v23
	v_add_f32_e32 v23, v124, v26
	;; [unrolled: 1-line block ×4, first 2 shown]
	v_dual_mul_f32 v78, 0xbe750f2a, v134 :: v_dual_add_f32 v23, v74, v23
	s_delay_alu instid0(VALU_DEP_3) | instskip(NEXT) | instid1(VALU_DEP_1)
	v_dual_add_f32 v26, v117, v26 :: v_dual_fmac_f32 v79, 0xbf52af12, v12
	v_dual_add_f32 v23, v30, v23 :: v_dual_add_f32 v26, v27, v26
	v_add_f32_e32 v27, v1, v141
	v_fma_f32 v30, 0xbf788fa5, v11, -v148
	v_fma_f32 v13, 0x3df6dbef, v17, -v165
	s_delay_alu instid0(VALU_DEP_4) | instskip(NEXT) | instid1(VALU_DEP_4)
	v_dual_add_f32 v23, v25, v23 :: v_dual_add_f32 v24, v24, v26
	v_add_f32_e32 v25, v144, v27
	s_delay_alu instid0(VALU_DEP_4) | instskip(SKIP_1) | instid1(VALU_DEP_4)
	v_add_f32_e32 v26, v0, v30
	v_fma_f32 v27, 0x3f62ad3f, v14, -v152
	v_dual_add_f32 v23, v36, v23 :: v_dual_add_f32 v30, v31, v24
	s_delay_alu instid0(VALU_DEP_4) | instskip(SKIP_1) | instid1(VALU_DEP_4)
	v_add_f32_e32 v25, v147, v25
	v_fma_f32 v36, 0xbf3f9e67, v14, -v155
	v_add_f32_e32 v26, v27, v26
	v_fma_f32 v27, 0xbf3f9e67, v15, -v151
	s_delay_alu instid0(VALU_DEP_4) | instskip(SKIP_2) | instid1(VALU_DEP_4)
	v_dual_add_f32 v24, v38, v23 :: v_dual_add_f32 v25, v143, v25
	v_add_f32_e32 v23, v29, v30
	v_fma_f32 v29, 0xbeb58ec6, v17, -v157
	v_add_f32_e32 v26, v27, v26
	v_fma_f32 v27, 0x3f116cb1, v16, -v154
	v_add_f32_e32 v25, v149, v25
	v_add_f32_e32 v30, v1, v142
	v_fma_f32 v38, 0xbeb58ec6, v14, -v159
	s_delay_alu instid0(VALU_DEP_3) | instskip(SKIP_1) | instid1(VALU_DEP_4)
	v_dual_add_f32 v27, v27, v26 :: v_dual_add_f32 v26, v153, v25
	v_fma_f32 v25, 0xbeb58ec6, v11, -v137
	v_add_f32_e32 v30, v136, v30
	v_fma_f32 v10, 0xbeb58ec6, v16, -v75
	s_delay_alu instid0(VALU_DEP_4) | instskip(SKIP_3) | instid1(VALU_DEP_3)
	v_add_f32_e32 v27, v29, v27
	v_fma_f32 v29, 0x3df6dbef, v18, -v150
	v_add_f32_e32 v31, v0, v25
	v_fmac_f32_e32 v37, 0xbe750f2a, v9
	v_add_f32_e32 v25, v29, v27
	v_add_f32_e32 v27, v138, v30
	s_delay_alu instid0(VALU_DEP_4)
	v_add_f32_e32 v29, v36, v31
	v_fma_f32 v30, 0x3f62ad3f, v15, -v156
	v_add_f32_e32 v31, v1, v113
	v_add_f32_e32 v1, v1, v106
	;; [unrolled: 1-line block ×3, first 2 shown]
	v_fma_f32 v36, 0xbf788fa5, v17, -v161
	v_add_f32_e32 v29, v30, v29
	v_fma_f32 v30, 0x3df6dbef, v16, -v146
	v_add_f32_e32 v31, v77, v31
	v_add_f32_e32 v27, v139, v27
	v_add_f32_e32 v1, v79, v1
	s_delay_alu instid0(VALU_DEP_4) | instskip(NEXT) | instid1(VALU_DEP_4)
	v_add_f32_e32 v29, v30, v29
	v_add_f32_e32 v31, v121, v31
	s_delay_alu instid0(VALU_DEP_4)
	v_add_f32_e32 v30, v158, v27
	v_fma_f32 v27, 0x3f116cb1, v11, -v133
	v_fma_f32 v11, 0x3f62ad3f, v11, -v119
	v_add_f32_e32 v1, v114, v1
	v_add_f32_e32 v31, v130, v31
	v_mul_f32_e32 v105, 0xbf29c268, v132
	v_add_f32_e32 v27, v0, v27
	v_add_f32_e32 v0, v0, v11
	v_fma_f32 v11, 0x3f116cb1, v14, -v120
	s_delay_alu instid0(VALU_DEP_4) | instskip(NEXT) | instid1(VALU_DEP_4)
	v_dual_add_f32 v28, v76, v31 :: v_dual_fmamk_f32 v39, v17, 0xbf3f9e67, v105
	v_add_f32_e32 v27, v38, v27
	v_fma_f32 v31, 0xbf788fa5, v15, -v135
	v_fma_f32 v14, 0xbf3f9e67, v16, -v162
	v_add_f32_e32 v0, v11, v0
	v_dual_add_f32 v34, v39, v34 :: v_dual_fmamk_f32 v39, v18, 0xbf788fa5, v78
	s_delay_alu instid0(VALU_DEP_4) | instskip(SKIP_3) | instid1(VALU_DEP_4)
	v_add_f32_e32 v12, v31, v27
	v_fma_f32 v11, 0x3df6dbef, v15, -v112
	v_add_f32_e32 v1, v168, v1
	v_fma_f32 v8, 0xbf3f9e67, v17, -v105
	v_dual_add_f32 v29, v36, v29 :: v_dual_add_f32 v12, v14, v12
	s_delay_alu instid0(VALU_DEP_4)
	v_add_f32_e32 v0, v11, v0
	v_fma_f32 v36, 0x3f116cb1, v18, -v145
	v_add_f32_e32 v34, v39, v34
	v_fma_f32 v14, 0xbf788fa5, v18, -v78
	v_add_f32_e32 v11, v13, v12
	v_add_f32_e32 v0, v10, v0
	v_mul_u32_u24_e32 v12, 0x9c, v110
	v_fma_f32 v10, 0x3f62ad3f, v18, -v167
	v_add_f32_e32 v13, v118, v1
	v_add_f32_e32 v29, v36, v29
	v_dual_add_f32 v8, v8, v0 :: v_dual_add_f32 v23, v111, v23
	v_add_lshl_u32 v12, v12, v109, 3
	v_dual_add_f32 v1, v160, v28 :: v_dual_add_f32 v0, v10, v11
	s_delay_alu instid0(VALU_DEP_3)
	v_dual_add_f32 v8, v14, v8 :: v_dual_add_f32 v9, v37, v13
	ds_store_2addr_b64 v12, v[23:24], v[34:35] offset1:12
	ds_store_2addr_b64 v12, v[72:73], v[32:33] offset0:24 offset1:36
	ds_store_2addr_b64 v12, v[21:22], v[19:20] offset0:48 offset1:60
	;; [unrolled: 1-line block ×5, first 2 shown]
	ds_store_b64 v12, v[8:9] offset:1152
.LBB0_9:
	s_wait_alu 0xfffe
	s_or_b32 exec_lo, exec_lo, s0
	v_add_nc_u32_e32 v1, 0xc00, v108
	v_add_nc_u32_e32 v2, 0x1c00, v108
	global_wb scope:SCOPE_SE
	s_wait_dscnt 0x0
	s_barrier_signal -1
	s_barrier_wait -1
	global_inv scope:SCOPE_SE
	ds_load_2addr_b64 v[4:7], v1 offset0:84 offset1:201
	ds_load_2addr_b64 v[8:11], v2 offset0:40 offset1:157
	v_add_nc_u32_e32 v28, 0x1400, v108
	v_add_nc_u32_e32 v0, 0x2400, v108
	;; [unrolled: 1-line block ×3, first 2 shown]
	s_mov_b32 s0, 0xc201756d
	s_mov_b32 s1, 0x3f4756ca
	s_wait_dscnt 0x0
	v_dual_mul_f32 v33, v53, v7 :: v_dual_mul_f32 v36, v55, v10
	v_mul_f32_e32 v31, v43, v9
	ds_load_2addr_b64 v[12:15], v28 offset0:62 offset1:179
	ds_load_2addr_b64 v[16:19], v108 offset1:117
	ds_load_2addr_b64 v[20:23], v0 offset0:18 offset1:135
	ds_load_2addr_b64 v[24:27], v3 offset0:106 offset1:223
	v_mul_f32_e32 v29, v41, v5
	v_dual_mul_f32 v30, v41, v4 :: v_dual_mul_f32 v35, v55, v11
	v_mul_f32_e32 v32, v43, v8
	s_delay_alu instid0(VALU_DEP_3) | instskip(SKIP_1) | instid1(VALU_DEP_4)
	v_dual_mul_f32 v34, v53, v6 :: v_dual_fmac_f32 v29, v40, v4
	v_fmac_f32_e32 v33, v52, v6
	v_fma_f32 v5, v40, v5, -v30
	v_fmac_f32_e32 v31, v42, v8
	s_delay_alu instid0(VALU_DEP_4)
	v_fma_f32 v30, v52, v7, -v34
	v_fmac_f32_e32 v35, v54, v10
	v_fma_f32 v11, v54, v11, -v36
	global_wb scope:SCOPE_SE
	s_wait_dscnt 0x0
	s_barrier_signal -1
	s_barrier_wait -1
	global_inv scope:SCOPE_SE
	v_dual_mul_f32 v6, v51, v20 :: v_dual_mul_f32 v37, v49, v13
	v_mul_f32_e32 v4, v49, v12
	v_fma_f32 v9, v42, v9, -v32
	v_mul_f32_e32 v32, v51, v21
	s_delay_alu instid0(VALU_DEP_4) | instskip(NEXT) | instid1(VALU_DEP_4)
	v_dual_mul_f32 v36, v45, v15 :: v_dual_fmac_f32 v37, v48, v12
	v_fma_f32 v34, v48, v13, -v4
	v_mul_f32_e32 v4, v45, v14
	s_delay_alu instid0(VALU_DEP_4) | instskip(SKIP_2) | instid1(VALU_DEP_4)
	v_dual_fmac_f32 v32, v50, v20 :: v_dual_add_f32 v7, v16, v29
	v_fma_f32 v21, v50, v21, -v6
	v_mul_f32_e32 v38, v47, v23
	v_fma_f32 v39, v44, v15, -v4
	v_dual_add_f32 v4, v29, v31 :: v_dual_add_f32 v13, v18, v33
	v_add_f32_e32 v8, v5, v9
	v_sub_f32_e32 v15, v33, v35
	v_sub_f32_e32 v12, v29, v31
	v_mul_f32_e32 v6, v47, v22
	v_fma_f32 v4, -0.5, v4, v16
	v_sub_f32_e32 v10, v5, v9
	v_add_f32_e32 v16, v24, v37
	s_delay_alu instid0(VALU_DEP_4)
	v_fma_f32 v23, v46, v23, -v6
	v_dual_add_f32 v6, v7, v31 :: v_dual_add_f32 v7, v17, v5
	v_fmac_f32_e32 v36, v44, v14
	v_fma_f32 v5, -0.5, v8, v17
	v_fmac_f32_e32 v38, v46, v22
	v_fmamk_f32 v8, v10, 0xbf5db3d7, v4
	v_dual_fmac_f32 v4, 0x3f5db3d7, v10 :: v_dual_sub_f32 v17, v34, v21
	v_add_f32_e32 v7, v7, v9
	v_fmamk_f32 v9, v12, 0x3f5db3d7, v5
	v_dual_fmac_f32 v5, 0xbf5db3d7, v12 :: v_dual_add_f32 v12, v30, v11
	v_sub_f32_e32 v31, v36, v38
	v_add_f32_e32 v22, v25, v34
	v_add_f32_e32 v10, v33, v35
	v_sub_f32_e32 v14, v30, v11
	v_sub_f32_e32 v29, v39, v23
	s_delay_alu instid0(VALU_DEP_3) | instskip(SKIP_2) | instid1(VALU_DEP_3)
	v_fma_f32 v18, -0.5, v10, v18
	v_dual_add_f32 v10, v13, v35 :: v_dual_add_f32 v13, v19, v30
	v_dual_fmac_f32 v19, -0.5, v12 :: v_dual_add_f32 v30, v27, v39
	v_fmamk_f32 v12, v14, 0xbf5db3d7, v18
	s_delay_alu instid0(VALU_DEP_3) | instskip(NEXT) | instid1(VALU_DEP_3)
	v_dual_fmac_f32 v18, 0x3f5db3d7, v14 :: v_dual_add_f32 v11, v13, v11
	v_dual_add_f32 v14, v37, v32 :: v_dual_fmamk_f32 v13, v15, 0x3f5db3d7, v19
	v_fmac_f32_e32 v19, 0xbf5db3d7, v15
	v_add_f32_e32 v15, v34, v21
	ds_store_2addr_b64 v108, v[6:7], v[8:9] offset1:156
	ds_store_b64 v108, v[4:5] offset:2496
	v_fma_f32 v14, -0.5, v14, v24
	v_sub_f32_e32 v24, v37, v32
	v_add_nc_u32_e32 v4, 0x1c00, v127
	v_fma_f32 v15, -0.5, v15, v25
	s_delay_alu instid0(VALU_DEP_4) | instskip(SKIP_2) | instid1(VALU_DEP_4)
	v_dual_add_f32 v25, v26, v36 :: v_dual_fmamk_f32 v20, v17, 0xbf5db3d7, v14
	v_fmac_f32_e32 v14, 0x3f5db3d7, v17
	v_dual_add_f32 v17, v22, v21 :: v_dual_add_f32 v22, v36, v38
	v_fmamk_f32 v21, v24, 0x3f5db3d7, v15
	v_dual_fmac_f32 v15, 0xbf5db3d7, v24 :: v_dual_add_f32 v24, v39, v23
	v_add_f32_e32 v23, v30, v23
	s_delay_alu instid0(VALU_DEP_4) | instskip(NEXT) | instid1(VALU_DEP_3)
	v_fma_f32 v26, -0.5, v22, v26
	v_dual_add_f32 v22, v25, v38 :: v_dual_fmac_f32 v27, -0.5, v24
	v_add_f32_e32 v16, v16, v32
	s_delay_alu instid0(VALU_DEP_3) | instskip(NEXT) | instid1(VALU_DEP_3)
	v_fmamk_f32 v24, v29, 0xbf5db3d7, v26
	v_dual_fmac_f32 v26, 0x3f5db3d7, v29 :: v_dual_fmamk_f32 v25, v31, 0x3f5db3d7, v27
	v_fmac_f32_e32 v27, 0xbf5db3d7, v31
	ds_store_2addr_b64 v129, v[10:11], v[12:13] offset1:156
	ds_store_b64 v129, v[18:19] offset:2496
	ds_store_2addr_b64 v128, v[16:17], v[20:21] offset1:156
	ds_store_b64 v128, v[14:15] offset:2496
	ds_store_2addr_b64 v4, v[22:23], v[24:25] offset0:40 offset1:196
	ds_store_b64 v127, v[26:27] offset:9984
	global_wb scope:SCOPE_SE
	s_wait_dscnt 0x0
	s_barrier_signal -1
	s_barrier_wait -1
	global_inv scope:SCOPE_SE
	ds_load_2addr_b64 v[4:7], v1 offset0:84 offset1:201
	ds_load_2addr_b64 v[8:11], v2 offset0:40 offset1:157
	;; [unrolled: 1-line block ×4, first 2 shown]
	ds_load_2addr_b64 v[20:23], v108 offset1:117
	ds_load_2addr_b64 v[24:27], v3 offset0:106 offset1:223
	s_wait_dscnt 0x5
	v_mul_f32_e32 v29, v69, v5
	s_wait_dscnt 0x4
	v_mul_f32_e32 v31, v71, v9
	;; [unrolled: 2-line block ×4, first 2 shown]
	v_fmac_f32_e32 v29, v68, v4
	v_mul_f32_e32 v30, v69, v4
	v_fmac_f32_e32 v31, v70, v8
	s_delay_alu instid0(VALU_DEP_4) | instskip(SKIP_1) | instid1(VALU_DEP_4)
	v_fmac_f32_e32 v35, v62, v16
	v_fmac_f32_e32 v37, v56, v14
	v_fma_f32 v5, v68, v5, -v30
	v_mul_f32_e32 v4, v71, v8
	v_mul_f32_e32 v8, v65, v6
	s_delay_alu instid0(VALU_DEP_2) | instskip(SKIP_2) | instid1(VALU_DEP_4)
	v_fma_f32 v9, v70, v9, -v4
	v_mul_f32_e32 v30, v65, v7
	v_mul_f32_e32 v4, v67, v10
	v_fma_f32 v33, v64, v7, -v8
	s_wait_dscnt 0x1
	v_add_f32_e32 v7, v20, v29
	v_fmac_f32_e32 v30, v64, v6
	v_mul_f32_e32 v32, v67, v11
	v_mul_f32_e32 v34, v61, v13
	;; [unrolled: 1-line block ×3, first 2 shown]
	v_fma_f32 v11, v66, v11, -v4
	v_mul_f32_e32 v4, v63, v16
	s_delay_alu instid0(VALU_DEP_4) | instskip(NEXT) | instid1(VALU_DEP_4)
	v_fmac_f32_e32 v34, v60, v12
	v_fma_f32 v36, v60, v13, -v6
	v_sub_f32_e32 v12, v29, v31
	s_delay_alu instid0(VALU_DEP_4)
	v_fma_f32 v17, v62, v17, -v4
	v_mul_f32_e32 v6, v57, v14
	v_mul_f32_e32 v4, v59, v18
	v_add_f32_e32 v13, v22, v30
	v_fmac_f32_e32 v32, v66, v10
	v_sub_f32_e32 v14, v33, v11
	v_fma_f32 v39, v56, v15, -v6
	v_add_f32_e32 v6, v29, v31
	v_fma_f32 v40, v58, v19, -v4
	v_add_f32_e32 v8, v5, v9
	s_wait_dscnt 0x0
	v_dual_sub_f32 v10, v5, v9 :: v_dual_add_f32 v29, v27, v39
	v_fma_f32 v4, -0.5, v6, v20
	v_dual_add_f32 v6, v7, v31 :: v_dual_add_f32 v7, v21, v5
	v_fma_f32 v5, -0.5, v8, v21
	v_dual_mul_f32 v38, v59, v19 :: v_dual_sub_f32 v19, v36, v17
	s_delay_alu instid0(VALU_DEP_4) | instskip(NEXT) | instid1(VALU_DEP_4)
	v_fmamk_f32 v8, v10, 0xbf5db3d7, v4
	v_dual_fmac_f32 v4, 0x3f5db3d7, v10 :: v_dual_add_f32 v7, v7, v9
	s_delay_alu instid0(VALU_DEP_4) | instskip(SKIP_4) | instid1(VALU_DEP_3)
	v_fmamk_f32 v9, v12, 0x3f5db3d7, v5
	v_fmac_f32_e32 v5, 0xbf5db3d7, v12
	v_add_f32_e32 v10, v30, v32
	v_add_f32_e32 v12, v33, v11
	v_add_f32_e32 v20, v25, v36
	v_fma_f32 v22, -0.5, v10, v22
	v_dual_add_f32 v10, v13, v32 :: v_dual_add_f32 v13, v23, v33
	s_delay_alu instid0(VALU_DEP_4) | instskip(SKIP_1) | instid1(VALU_DEP_4)
	v_fmac_f32_e32 v23, -0.5, v12
	v_sub_f32_e32 v15, v30, v32
	v_fmamk_f32 v12, v14, 0xbf5db3d7, v22
	s_delay_alu instid0(VALU_DEP_4) | instskip(NEXT) | instid1(VALU_DEP_3)
	v_dual_fmac_f32 v22, 0x3f5db3d7, v14 :: v_dual_add_f32 v11, v13, v11
	v_dual_add_f32 v14, v34, v35 :: v_dual_fmamk_f32 v13, v15, 0x3f5db3d7, v23
	v_fmac_f32_e32 v23, 0xbf5db3d7, v15
	v_add_f32_e32 v15, v36, v17
	v_sub_f32_e32 v21, v34, v35
	s_delay_alu instid0(VALU_DEP_4)
	v_fma_f32 v14, -0.5, v14, v24
	v_add_f32_e32 v17, v20, v17
	v_add_f32_e32 v16, v24, v34
	v_fma_f32 v15, -0.5, v15, v25
	v_fmac_f32_e32 v38, v58, v18
	v_fmamk_f32 v18, v19, 0xbf5db3d7, v14
	v_fmac_f32_e32 v14, 0x3f5db3d7, v19
	s_delay_alu instid0(VALU_DEP_4) | instskip(NEXT) | instid1(VALU_DEP_4)
	v_dual_add_f32 v24, v26, v37 :: v_dual_fmamk_f32 v19, v21, 0x3f5db3d7, v15
	v_dual_add_f32 v20, v37, v38 :: v_dual_fmac_f32 v15, 0xbf5db3d7, v21
	v_add_f32_e32 v21, v39, v40
	v_dual_sub_f32 v25, v39, v40 :: v_dual_sub_f32 v30, v37, v38
	s_delay_alu instid0(VALU_DEP_3) | instskip(NEXT) | instid1(VALU_DEP_3)
	v_fma_f32 v26, -0.5, v20, v26
	v_dual_add_f32 v16, v16, v35 :: v_dual_fmac_f32 v27, -0.5, v21
	v_add_f32_e32 v21, v29, v40
	v_dual_add_f32 v20, v24, v38 :: v_dual_add_nc_u32 v29, 0x1000, v108
	s_delay_alu instid0(VALU_DEP_4) | instskip(NEXT) | instid1(VALU_DEP_4)
	v_fmamk_f32 v24, v25, 0xbf5db3d7, v26
	v_dual_fmac_f32 v26, 0x3f5db3d7, v25 :: v_dual_fmamk_f32 v25, v30, 0x3f5db3d7, v27
	v_fmac_f32_e32 v27, 0xbf5db3d7, v30
	ds_store_b64 v108, v[8:9] offset:3744
	ds_store_b64 v108, v[4:5] offset:7488
	ds_store_2addr_b64 v108, v[6:7], v[10:11] offset1:117
	ds_store_b64 v108, v[22:23] offset:8424
	ds_store_2addr_b64 v29, v[12:13], v[18:19] offset0:73 offset1:190
	ds_store_2addr_b64 v3, v[16:17], v[20:21] offset0:106 offset1:223
	ds_store_b64 v108, v[24:25] offset:6552
	ds_store_2addr_b64 v0, v[14:15], v[26:27] offset0:18 offset1:135
	global_wb scope:SCOPE_SE
	s_wait_dscnt 0x0
	s_barrier_signal -1
	s_barrier_wait -1
	global_inv scope:SCOPE_SE
	ds_load_2addr_b64 v[4:7], v108 offset1:117
	v_mad_co_u64_u32 v[20:21], null, s6, v88, 0
	v_mad_co_u64_u32 v[22:23], null, s4, v107, 0
	s_wait_dscnt 0x0
	v_mul_f32_e32 v9, v104, v4
	v_mul_f32_e32 v8, v104, v5
	s_delay_alu instid0(VALU_DEP_2) | instskip(NEXT) | instid1(VALU_DEP_2)
	v_fma_f32 v9, v103, v5, -v9
	v_fmac_f32_e32 v8, v103, v4
	s_delay_alu instid0(VALU_DEP_2) | instskip(NEXT) | instid1(VALU_DEP_2)
	v_cvt_f64_f32_e32 v[12:13], v9
	v_cvt_f64_f32_e32 v[4:5], v8
	ds_load_2addr_b64 v[8:11], v28 offset0:62 offset1:179
	s_wait_dscnt 0x0
	v_mul_f32_e32 v15, v102, v8
	v_mul_f32_e32 v14, v102, v9
	s_delay_alu instid0(VALU_DEP_1) | instskip(SKIP_3) | instid1(VALU_DEP_3)
	v_fmac_f32_e32 v14, v101, v8
	s_wait_alu 0xfffe
	v_mul_f64_e32 v[16:17], s[0:1], v[12:13]
	v_fma_f32 v12, v101, v9, -v15
	v_cvt_f64_f32_e32 v[8:9], v14
	v_mul_f64_e32 v[4:5], s[0:1], v[4:5]
	s_delay_alu instid0(VALU_DEP_3) | instskip(SKIP_1) | instid1(VALU_DEP_1)
	v_cvt_f64_f32_e32 v[18:19], v12
	v_dual_mov_b32 v12, v21 :: v_dual_mov_b32 v21, v23
	v_mad_co_u64_u32 v[23:24], null, s7, v88, v[12:13]
	ds_load_2addr_b64 v[12:15], v3 offset0:106 offset1:223
	v_mad_co_u64_u32 v[24:25], null, s5, v107, v[21:22]
	v_mov_b32_e32 v21, v23
	s_delay_alu instid0(VALU_DEP_2) | instskip(NEXT) | instid1(VALU_DEP_2)
	v_mov_b32_e32 v23, v24
	v_lshlrev_b64_e32 v[20:21], 3, v[20:21]
	s_delay_alu instid0(VALU_DEP_2)
	v_lshlrev_b64_e32 v[22:23], 3, v[22:23]
	s_wait_dscnt 0x0
	v_mul_f32_e32 v24, v85, v15
	v_mul_f32_e32 v39, v85, v14
	v_cvt_f32_f64_e32 v26, v[16:17]
	v_mul_f32_e32 v16, v96, v11
	v_mul_f64_e32 v[27:28], s[0:1], v[8:9]
	v_mul_f32_e32 v8, v100, v7
	v_mul_f32_e32 v9, v100, v6
	;; [unrolled: 1-line block ×3, first 2 shown]
	v_mul_f64_e32 v[29:30], s[0:1], v[18:19]
	v_mul_f32_e32 v18, v81, v13
	v_cvt_f32_f64_e32 v25, v[4:5]
	ds_load_2addr_b64 v[2:5], v2 offset0:40 offset1:157
	v_fmac_f32_e32 v16, v95, v10
	v_fmac_f32_e32 v8, v99, v6
	;; [unrolled: 1-line block ×3, first 2 shown]
	v_fma_f32 v6, v99, v7, -v9
	v_fma_f32 v7, v95, v11, -v17
	v_cvt_f64_f32_e32 v[33:34], v16
	v_cvt_f64_f32_e32 v[10:11], v8
	;; [unrolled: 1-line block ×3, first 2 shown]
	ds_load_2addr_b64 v[16:19], v0 offset0:18 offset1:135
	v_cvt_f64_f32_e32 v[31:32], v6
	v_cvt_f64_f32_e32 v[35:36], v7
	ds_load_2addr_b64 v[6:9], v1 offset0:84 offset1:201
	v_mul_f32_e32 v0, v81, v12
	v_fmac_f32_e32 v24, v84, v14
	v_fma_f32 v39, v84, v15, -v39
	s_delay_alu instid0(VALU_DEP_3) | instskip(NEXT) | instid1(VALU_DEP_3)
	v_fma_f32 v0, v80, v13, -v0
	v_cvt_f64_f32_e32 v[14:15], v24
	s_wait_dscnt 0x2
	v_mul_f32_e32 v12, v94, v3
	v_mul_f32_e32 v1, v94, v2
	;; [unrolled: 1-line block ×4, first 2 shown]
	v_cvt_f64_f32_e32 v[39:40], v39
	v_fmac_f32_e32 v12, v93, v2
	v_fma_f32 v13, v93, v3, -v1
	v_cvt_f64_f32_e32 v[0:1], v0
	s_wait_dscnt 0x1
	v_dual_fmac_f32 v24, v89, v4 :: v_dual_mul_f32 v49, v98, v18
	v_mul_f32_e32 v45, v83, v17
	v_cvt_f64_f32_e32 v[2:3], v12
	s_wait_dscnt 0x0
	v_mul_f32_e32 v42, v87, v7
	v_mul_f32_e32 v43, v87, v6
	v_cvt_f64_f32_e32 v[12:13], v13
	v_fmac_f32_e32 v45, v82, v16
	v_mul_f32_e32 v16, v83, v16
	v_fma_f32 v41, v89, v5, -v41
	v_cvt_f64_f32_e32 v[4:5], v24
	v_mul_f32_e32 v24, v92, v9
	v_dual_mul_f32 v47, v92, v8 :: v_dual_mul_f32 v48, v98, v19
	v_fmac_f32_e32 v42, v86, v6
	v_fma_f32 v43, v86, v7, -v43
	v_fma_f32 v16, v82, v17, -v16
	v_fmac_f32_e32 v24, v91, v8
	v_fma_f32 v47, v91, v9, -v47
	v_fmac_f32_e32 v48, v97, v18
	v_fma_f32 v49, v97, v19, -v49
	v_cvt_f64_f32_e32 v[6:7], v41
	v_cvt_f64_f32_e32 v[41:42], v42
	;; [unrolled: 1-line block ×9, first 2 shown]
	v_add_co_u32 v24, vcc_lo, s2, v20
	v_mul_f64_e32 v[10:11], s[0:1], v[10:11]
	s_wait_alu 0xfffd
	v_add_co_ci_u32_e32 v51, vcc_lo, s3, v21, vcc_lo
	v_mul_f64_e32 v[20:21], s[0:1], v[31:32]
	v_add_co_u32 v22, vcc_lo, v24, v22
	s_wait_alu 0xfffd
	s_delay_alu instid0(VALU_DEP_3)
	v_add_co_ci_u32_e32 v23, vcc_lo, v51, v23, vcc_lo
	v_mul_f64_e32 v[31:32], s[0:1], v[33:34]
	v_mul_f64_e32 v[33:34], s[0:1], v[35:36]
	;; [unrolled: 1-line block ×3, first 2 shown]
	global_store_b64 v[22:23], v[25:26], off
	v_mul_f64_e32 v[24:25], s[0:1], v[37:38]
	v_mul_f64_e32 v[2:3], s[0:1], v[2:3]
	;; [unrolled: 1-line block ×3, first 2 shown]
	v_cvt_f32_f64_e32 v26, v[27:28]
	v_cvt_f32_f64_e32 v27, v[29:30]
	v_mul_f64_e32 v[14:15], s[0:1], v[14:15]
	v_mul_f64_e32 v[28:29], s[0:1], v[39:40]
	;; [unrolled: 1-line block ×3, first 2 shown]
	s_mul_u64 s[2:3], s[4:5], 0x15f0
	s_wait_alu 0xfffe
	v_add_co_u32 v22, vcc_lo, v22, s2
	s_wait_alu 0xfffd
	v_add_co_ci_u32_e32 v23, vcc_lo, s3, v23, vcc_lo
	v_mul_f64_e32 v[6:7], s[0:1], v[6:7]
	v_mul_f64_e32 v[35:36], s[0:1], v[41:42]
	;; [unrolled: 1-line block ×9, first 2 shown]
	s_movk_i32 s0, 0xedb8
	s_mov_b32 s1, -1
	v_cvt_f32_f64_e32 v10, v[10:11]
	s_wait_alu 0xfffe
	s_mul_u64 s[0:1], s[4:5], s[0:1]
	v_cvt_f32_f64_e32 v11, v[20:21]
	s_wait_alu 0xfffe
	v_add_co_u32 v20, vcc_lo, v22, s0
	s_wait_alu 0xfffd
	v_add_co_ci_u32_e32 v21, vcc_lo, s1, v23, vcc_lo
	v_cvt_f32_f64_e32 v30, v[31:32]
	v_cvt_f32_f64_e32 v31, v[33:34]
	v_add_co_u32 v32, vcc_lo, v20, s2
	v_cvt_f32_f64_e32 v24, v[24:25]
	v_cvt_f32_f64_e32 v25, v[0:1]
	;; [unrolled: 1-line block ×4, first 2 shown]
	s_wait_alu 0xfffd
	v_add_co_ci_u32_e32 v33, vcc_lo, s3, v21, vcc_lo
	v_cvt_f32_f64_e32 v12, v[14:15]
	v_cvt_f32_f64_e32 v13, v[28:29]
	v_add_co_u32 v2, vcc_lo, v32, s0
	v_cvt_f32_f64_e32 v4, v[4:5]
	s_wait_alu 0xfffd
	v_add_co_ci_u32_e32 v3, vcc_lo, s1, v33, vcc_lo
	global_store_b64 v[22:23], v[26:27], off
	v_cvt_f32_f64_e32 v5, v[6:7]
	v_cvt_f32_f64_e32 v6, v[35:36]
	;; [unrolled: 1-line block ×9, first 2 shown]
	v_add_co_u32 v18, vcc_lo, v2, s2
	s_wait_alu 0xfffd
	v_add_co_ci_u32_e32 v19, vcc_lo, s3, v3, vcc_lo
	s_delay_alu instid0(VALU_DEP_2) | instskip(SKIP_1) | instid1(VALU_DEP_2)
	v_add_co_u32 v22, vcc_lo, v18, s0
	s_wait_alu 0xfffd
	v_add_co_ci_u32_e32 v23, vcc_lo, s1, v19, vcc_lo
	global_store_b64 v[20:21], v[10:11], off
	v_add_co_u32 v10, vcc_lo, v22, s2
	s_wait_alu 0xfffd
	v_add_co_ci_u32_e32 v11, vcc_lo, s3, v23, vcc_lo
	global_store_b64 v[32:33], v[30:31], off
	;; [unrolled: 4-line block ×6, first 2 shown]
	global_store_b64 v[20:21], v[6:7], off
	global_store_b64 v[2:3], v[14:15], off
	global_store_b64 v[0:1], v[8:9], off
	global_store_b64 v[12:13], v[16:17], off
.LBB0_10:
	s_nop 0
	s_sendmsg sendmsg(MSG_DEALLOC_VGPRS)
	s_endpgm
	.section	.rodata,"a",@progbits
	.p2align	6, 0x0
	.amdhsa_kernel bluestein_single_fwd_len1404_dim1_sp_op_CI_CI
		.amdhsa_group_segment_fixed_size 11232
		.amdhsa_private_segment_fixed_size 0
		.amdhsa_kernarg_size 104
		.amdhsa_user_sgpr_count 2
		.amdhsa_user_sgpr_dispatch_ptr 0
		.amdhsa_user_sgpr_queue_ptr 0
		.amdhsa_user_sgpr_kernarg_segment_ptr 1
		.amdhsa_user_sgpr_dispatch_id 0
		.amdhsa_user_sgpr_private_segment_size 0
		.amdhsa_wavefront_size32 1
		.amdhsa_uses_dynamic_stack 0
		.amdhsa_enable_private_segment 0
		.amdhsa_system_sgpr_workgroup_id_x 1
		.amdhsa_system_sgpr_workgroup_id_y 0
		.amdhsa_system_sgpr_workgroup_id_z 0
		.amdhsa_system_sgpr_workgroup_info 0
		.amdhsa_system_vgpr_workitem_id 0
		.amdhsa_next_free_vgpr 225
		.amdhsa_next_free_sgpr 20
		.amdhsa_reserve_vcc 1
		.amdhsa_float_round_mode_32 0
		.amdhsa_float_round_mode_16_64 0
		.amdhsa_float_denorm_mode_32 3
		.amdhsa_float_denorm_mode_16_64 3
		.amdhsa_fp16_overflow 0
		.amdhsa_workgroup_processor_mode 1
		.amdhsa_memory_ordered 1
		.amdhsa_forward_progress 0
		.amdhsa_round_robin_scheduling 0
		.amdhsa_exception_fp_ieee_invalid_op 0
		.amdhsa_exception_fp_denorm_src 0
		.amdhsa_exception_fp_ieee_div_zero 0
		.amdhsa_exception_fp_ieee_overflow 0
		.amdhsa_exception_fp_ieee_underflow 0
		.amdhsa_exception_fp_ieee_inexact 0
		.amdhsa_exception_int_div_zero 0
	.end_amdhsa_kernel
	.text
.Lfunc_end0:
	.size	bluestein_single_fwd_len1404_dim1_sp_op_CI_CI, .Lfunc_end0-bluestein_single_fwd_len1404_dim1_sp_op_CI_CI
                                        ; -- End function
	.section	.AMDGPU.csdata,"",@progbits
; Kernel info:
; codeLenInByte = 16516
; NumSgprs: 22
; NumVgprs: 225
; ScratchSize: 0
; MemoryBound: 0
; FloatMode: 240
; IeeeMode: 1
; LDSByteSize: 11232 bytes/workgroup (compile time only)
; SGPRBlocks: 2
; VGPRBlocks: 28
; NumSGPRsForWavesPerEU: 22
; NumVGPRsForWavesPerEU: 225
; Occupancy: 6
; WaveLimiterHint : 1
; COMPUTE_PGM_RSRC2:SCRATCH_EN: 0
; COMPUTE_PGM_RSRC2:USER_SGPR: 2
; COMPUTE_PGM_RSRC2:TRAP_HANDLER: 0
; COMPUTE_PGM_RSRC2:TGID_X_EN: 1
; COMPUTE_PGM_RSRC2:TGID_Y_EN: 0
; COMPUTE_PGM_RSRC2:TGID_Z_EN: 0
; COMPUTE_PGM_RSRC2:TIDIG_COMP_CNT: 0
	.text
	.p2alignl 7, 3214868480
	.fill 96, 4, 3214868480
	.type	__hip_cuid_985c4bdb6c429794,@object ; @__hip_cuid_985c4bdb6c429794
	.section	.bss,"aw",@nobits
	.globl	__hip_cuid_985c4bdb6c429794
__hip_cuid_985c4bdb6c429794:
	.byte	0                               ; 0x0
	.size	__hip_cuid_985c4bdb6c429794, 1

	.ident	"AMD clang version 19.0.0git (https://github.com/RadeonOpenCompute/llvm-project roc-6.4.0 25133 c7fe45cf4b819c5991fe208aaa96edf142730f1d)"
	.section	".note.GNU-stack","",@progbits
	.addrsig
	.addrsig_sym __hip_cuid_985c4bdb6c429794
	.amdgpu_metadata
---
amdhsa.kernels:
  - .args:
      - .actual_access:  read_only
        .address_space:  global
        .offset:         0
        .size:           8
        .value_kind:     global_buffer
      - .actual_access:  read_only
        .address_space:  global
        .offset:         8
        .size:           8
        .value_kind:     global_buffer
      - .actual_access:  read_only
        .address_space:  global
        .offset:         16
        .size:           8
        .value_kind:     global_buffer
      - .actual_access:  read_only
        .address_space:  global
        .offset:         24
        .size:           8
        .value_kind:     global_buffer
      - .actual_access:  read_only
        .address_space:  global
        .offset:         32
        .size:           8
        .value_kind:     global_buffer
      - .offset:         40
        .size:           8
        .value_kind:     by_value
      - .address_space:  global
        .offset:         48
        .size:           8
        .value_kind:     global_buffer
      - .address_space:  global
        .offset:         56
        .size:           8
        .value_kind:     global_buffer
      - .address_space:  global
        .offset:         64
        .size:           8
        .value_kind:     global_buffer
      - .address_space:  global
        .offset:         72
        .size:           8
        .value_kind:     global_buffer
      - .offset:         80
        .size:           4
        .value_kind:     by_value
      - .address_space:  global
        .offset:         88
        .size:           8
        .value_kind:     global_buffer
      - .address_space:  global
        .offset:         96
        .size:           8
        .value_kind:     global_buffer
    .group_segment_fixed_size: 11232
    .kernarg_segment_align: 8
    .kernarg_segment_size: 104
    .language:       OpenCL C
    .language_version:
      - 2
      - 0
    .max_flat_workgroup_size: 117
    .name:           bluestein_single_fwd_len1404_dim1_sp_op_CI_CI
    .private_segment_fixed_size: 0
    .sgpr_count:     22
    .sgpr_spill_count: 0
    .symbol:         bluestein_single_fwd_len1404_dim1_sp_op_CI_CI.kd
    .uniform_work_group_size: 1
    .uses_dynamic_stack: false
    .vgpr_count:     225
    .vgpr_spill_count: 0
    .wavefront_size: 32
    .workgroup_processor_mode: 1
amdhsa.target:   amdgcn-amd-amdhsa--gfx1201
amdhsa.version:
  - 1
  - 2
...

	.end_amdgpu_metadata
